;; amdgpu-corpus repo=ROCm/rocFFT kind=compiled arch=gfx1030 opt=O3
	.text
	.amdgcn_target "amdgcn-amd-amdhsa--gfx1030"
	.amdhsa_code_object_version 6
	.protected	bluestein_single_back_len1680_dim1_dp_op_CI_CI ; -- Begin function bluestein_single_back_len1680_dim1_dp_op_CI_CI
	.globl	bluestein_single_back_len1680_dim1_dp_op_CI_CI
	.p2align	8
	.type	bluestein_single_back_len1680_dim1_dp_op_CI_CI,@function
bluestein_single_back_len1680_dim1_dp_op_CI_CI: ; @bluestein_single_back_len1680_dim1_dp_op_CI_CI
; %bb.0:
	s_load_dwordx4 s[8:11], s[4:5], 0x28
	v_mul_u32_u24_e32 v1, 0x24a, v0
	s_mov_b64 s[38:39], s[2:3]
	s_mov_b64 s[36:37], s[0:1]
	v_mov_b32_e32 v18, 0
	s_add_u32 s36, s36, s7
	v_lshrrev_b32_e32 v1, 16, v1
	s_addc_u32 s37, s37, 0
	s_mov_b32 s0, exec_lo
	v_add_nc_u32_e32 v17, s6, v1
	s_waitcnt lgkmcnt(0)
	v_cmpx_gt_u64_e64 s[8:9], v[17:18]
	s_cbranch_execz .LBB0_47
; %bb.1:
	s_clause 0x1
	s_load_dwordx4 s[0:3], s[4:5], 0x18
	s_load_dwordx2 s[6:7], s[4:5], 0x0
	v_mul_lo_u16 v1, 0x70, v1
	v_mov_b32_e32 v18, v17
	v_sub_nc_u16 v2, v0, v1
	v_and_b32_e32 v31, 0xffff, v2
	v_lshlrev_b32_e32 v30, 4, v31
	s_waitcnt lgkmcnt(0)
	s_load_dwordx4 s[12:15], s[0:1], 0x0
	s_clause 0x1
	global_load_dwordx4 v[52:55], v30, s[6:7]
	global_load_dwordx4 v[88:91], v30, s[6:7] offset:1792
	v_add_co_u32 v28, s0, s6, v30
	v_add_co_ci_u32_e64 v29, null, s7, 0, s0
	v_add_co_u32 v19, vcc_lo, 0x3000, v28
	v_add_co_ci_u32_e32 v20, vcc_lo, 0, v29, vcc_lo
	buffer_store_dword v18, off, s[36:39], 0 offset:12 ; 4-byte Folded Spill
	buffer_store_dword v19, off, s[36:39], 0 offset:16 ; 4-byte Folded Spill
	v_add_co_u32 v0, vcc_lo, 0x3800, v28
	v_add_co_ci_u32_e32 v1, vcc_lo, 0, v29, vcc_lo
	v_add_co_u32 v3, vcc_lo, 0x800, v28
	v_add_co_ci_u32_e32 v4, vcc_lo, 0, v29, vcc_lo
	v_add_co_u32 v5, vcc_lo, 0x4000, v28
	s_waitcnt lgkmcnt(0)
	v_mad_u64_u32 v[7:8], null, s14, v17, 0
	v_add_co_ci_u32_e32 v6, vcc_lo, 0, v29, vcc_lo
	v_add_co_u32 v9, vcc_lo, 0x1000, v28
	v_mad_u64_u32 v[11:12], null, s12, v31, 0
	v_add_co_ci_u32_e32 v10, vcc_lo, 0, v29, vcc_lo
	v_add_co_u32 v13, vcc_lo, 0x4800, v28
	;; [unrolled: 3-line block ×3, first 2 shown]
	v_add_co_ci_u32_e32 v16, vcc_lo, 0, v29, vcc_lo
	v_mov_b32_e32 v8, v17
	s_mul_i32 s1, s13, 0x348
	s_mul_hi_u32 s7, s12, 0x348
	s_mul_i32 s0, s12, 0x348
	s_mul_hi_u32 s9, s12, 0xfffffd28
	s_add_i32 s1, s7, s1
	s_mul_i32 s8, s13, 0xfffffd28
	s_mul_i32 s6, s12, 0xfffffd28
	s_sub_i32 s7, s9, s12
	buffer_store_dword v19, off, s[36:39], 0 offset:4 ; 4-byte Folded Spill
	buffer_store_dword v20, off, s[36:39], 0 offset:8 ; 4-byte Folded Spill
	s_add_i32 s7, s7, s8
	s_clause 0x1
	global_load_dwordx4 v[92:95], v[19:20], off offset:1152
	global_load_dwordx4 v[132:135], v[0:1], off offset:896
	v_mad_u64_u32 v[0:1], null, s13, v31, v[12:13]
	s_clause 0x1
	global_load_dwordx4 v[124:127], v[3:4], off offset:1536
	global_load_dwordx4 v[128:131], v[5:6], off offset:640
	s_lshl_b64 s[12:13], s[0:1], 4
	s_lshl_b64 s[0:1], s[6:7], 4
	s_clause 0x1
	global_load_dwordx4 v[120:123], v[9:10], off offset:1280
	global_load_dwordx4 v[116:119], v[13:14], off offset:384
	v_mov_b32_e32 v12, v0
	v_lshlrev_b64 v[0:1], 4, v[7:8]
	global_load_dwordx4 v[112:115], v[15:16], off offset:1024
	v_lshlrev_b64 v[3:4], 4, v[11:12]
	v_add_co_u32 v0, vcc_lo, s10, v0
	v_add_co_ci_u32_e32 v1, vcc_lo, s11, v1, vcc_lo
	v_add_co_u32 v0, vcc_lo, v0, v3
	v_add_co_ci_u32_e32 v1, vcc_lo, v1, v4, vcc_lo
	v_add_co_u32 v7, vcc_lo, v0, s12
	v_add_co_ci_u32_e32 v8, vcc_lo, s13, v1, vcc_lo
	v_add_co_u32 v11, vcc_lo, v7, s0
	v_add_co_ci_u32_e32 v12, vcc_lo, s1, v8, vcc_lo
	s_clause 0x1
	global_load_dwordx4 v[3:6], v[0:1], off
	global_load_dwordx4 v[7:10], v[7:8], off
	v_add_co_u32 v17, vcc_lo, v11, s12
	v_add_co_ci_u32_e32 v18, vcc_lo, s13, v12, vcc_lo
	v_add_co_u32 v19, vcc_lo, v17, s0
	v_add_co_ci_u32_e32 v20, vcc_lo, s1, v18, vcc_lo
	s_clause 0x1
	global_load_dwordx4 v[11:14], v[11:12], off
	global_load_dwordx4 v[15:18], v[17:18], off
	v_add_co_u32 v23, vcc_lo, v19, s12
	v_add_co_ci_u32_e32 v24, vcc_lo, s13, v20, vcc_lo
	v_add_co_u32 v32, vcc_lo, v23, s0
	v_add_co_ci_u32_e32 v33, vcc_lo, s1, v24, vcc_lo
	;; [unrolled: 2-line block ×4, first 2 shown]
	global_load_dwordx4 v[19:22], v[19:20], off
	global_load_dwordx4 v[23:26], v[23:24], off
	;; [unrolled: 1-line block ×5, first 2 shown]
	v_add_co_u32 v0, vcc_lo, v40, s12
	v_add_co_ci_u32_e32 v1, vcc_lo, s13, v41, vcc_lo
	v_add_co_u32 v40, vcc_lo, 0x5000, v28
	v_add_co_ci_u32_e32 v41, vcc_lo, 0, v29, vcc_lo
	;; [unrolled: 2-line block ×5, first 2 shown]
	global_load_dwordx4 v[60:63], v[0:1], off
	global_load_dwordx4 v[140:143], v[40:41], off offset:128
	global_load_dwordx4 v[64:67], v[42:43], off
	global_load_dwordx4 v[136:139], v[44:45], off offset:768
	global_load_dwordx4 v[68:71], v[46:47], off
	v_add_co_u32 v42, vcc_lo, v46, s0
	v_add_co_ci_u32_e32 v43, vcc_lo, s1, v47, vcc_lo
	v_add_co_u32 v44, vcc_lo, 0x2800, v28
	v_add_co_ci_u32_e32 v45, vcc_lo, 0, v29, vcc_lo
	v_add_co_u32 v46, vcc_lo, 0x5800, v28
	v_add_co_ci_u32_e32 v47, vcc_lo, 0, v29, vcc_lo
	v_add_co_u32 v0, vcc_lo, v42, s12
	v_add_co_ci_u32_e32 v1, vcc_lo, s13, v43, vcc_lo
	global_load_dwordx4 v[144:147], v[40:41], off offset:1920
	global_load_dwordx4 v[72:75], v[42:43], off
	s_clause 0x1
	global_load_dwordx4 v[148:151], v[44:45], off offset:512
	global_load_dwordx4 v[152:155], v[46:47], off offset:1664
	global_load_dwordx4 v[76:79], v[0:1], off
	v_cmp_gt_u16_e32 vcc_lo, 56, v2
	s_waitcnt vmcnt(18)
	v_mul_f64 v[40:41], v[5:6], v[54:55]
	s_waitcnt vmcnt(17)
	v_mul_f64 v[44:45], v[9:10], v[94:95]
	v_mul_f64 v[42:43], v[3:4], v[54:55]
	;; [unrolled: 1-line block ×3, first 2 shown]
	s_waitcnt vmcnt(16)
	v_mul_f64 v[48:49], v[13:14], v[90:91]
	v_mul_f64 v[50:51], v[11:12], v[90:91]
	s_waitcnt vmcnt(15)
	v_mul_f64 v[80:81], v[17:18], v[134:135]
	v_mul_f64 v[82:83], v[15:16], v[134:135]
	v_fma_f64 v[3:4], v[3:4], v[52:53], v[40:41]
	buffer_store_dword v52, off, s[36:39], 0 offset:20 ; 4-byte Folded Spill
	buffer_store_dword v53, off, s[36:39], 0 offset:24 ; 4-byte Folded Spill
	;; [unrolled: 1-line block ×4, first 2 shown]
	v_fma_f64 v[7:8], v[7:8], v[92:93], v[44:45]
	buffer_store_dword v92, off, s[36:39], 0 offset:148 ; 4-byte Folded Spill
	buffer_store_dword v93, off, s[36:39], 0 offset:152 ; 4-byte Folded Spill
	;; [unrolled: 1-line block ×4, first 2 shown]
	s_waitcnt vmcnt(14)
	v_mul_f64 v[84:85], v[21:22], v[126:127]
	s_waitcnt vmcnt(13)
	v_mul_f64 v[40:41], v[25:26], v[130:131]
	s_waitcnt vmcnt(12)
	v_mul_f64 v[44:45], v[34:35], v[122:123]
	v_mul_f64 v[86:87], v[19:20], v[126:127]
	v_fma_f64 v[11:12], v[11:12], v[88:89], v[48:49]
	buffer_store_dword v88, off, s[36:39], 0 offset:36 ; 4-byte Folded Spill
	buffer_store_dword v89, off, s[36:39], 0 offset:40 ; 4-byte Folded Spill
	;; [unrolled: 1-line block ×4, first 2 shown]
	s_waitcnt vmcnt(11)
	v_mul_f64 v[48:49], v[38:39], v[118:119]
	s_waitcnt vmcnt(10)
	v_mul_f64 v[90:91], v[56:57], v[114:115]
	v_fma_f64 v[15:16], v[15:16], v[132:133], v[80:81]
	buffer_store_dword v132, off, s[36:39], 0 offset:132 ; 4-byte Folded Spill
	buffer_store_dword v133, off, s[36:39], 0 offset:136 ; 4-byte Folded Spill
	;; [unrolled: 1-line block ×4, first 2 shown]
	s_waitcnt vmcnt(8)
	v_mul_f64 v[94:95], v[60:61], v[142:143]
	v_fma_f64 v[19:20], v[19:20], v[124:125], v[84:85]
	s_waitcnt vmcnt(6)
	v_mul_f64 v[96:97], v[66:67], v[138:139]
	v_mul_f64 v[98:99], v[64:65], v[138:139]
	buffer_store_dword v124, off, s[36:39], 0 offset:100 ; 4-byte Folded Spill
	buffer_store_dword v125, off, s[36:39], 0 offset:104 ; 4-byte Folded Spill
	;; [unrolled: 1-line block ×4, first 2 shown]
	s_waitcnt vmcnt(4)
	v_mul_f64 v[100:101], v[70:71], v[146:147]
	v_mul_f64 v[102:103], v[68:69], v[146:147]
	s_waitcnt vmcnt(2)
	v_mul_f64 v[104:105], v[74:75], v[150:151]
	v_mul_f64 v[106:107], v[72:73], v[150:151]
	s_waitcnt vmcnt(0)
	v_mul_f64 v[108:109], v[78:79], v[154:155]
	v_mul_f64 v[110:111], v[76:77], v[154:155]
	v_fma_f64 v[64:65], v[64:65], v[136:137], v[96:97]
	v_fma_f64 v[68:69], v[68:69], v[144:145], v[100:101]
	;; [unrolled: 1-line block ×4, first 2 shown]
	v_fma_f64 v[5:6], v[5:6], v[52:53], -v[42:43]
	v_mul_f64 v[42:43], v[23:24], v[130:131]
	v_fma_f64 v[9:10], v[9:10], v[92:93], -v[46:47]
	v_mul_f64 v[92:93], v[62:63], v[142:143]
	v_mul_f64 v[46:47], v[32:33], v[122:123]
	v_fma_f64 v[23:24], v[23:24], v[128:129], v[40:41]
	buffer_store_dword v128, off, s[36:39], 0 offset:116 ; 4-byte Folded Spill
	buffer_store_dword v129, off, s[36:39], 0 offset:120 ; 4-byte Folded Spill
	;; [unrolled: 1-line block ×4, first 2 shown]
	v_fma_f64 v[32:33], v[32:33], v[120:121], v[44:45]
	buffer_store_dword v120, off, s[36:39], 0 offset:84 ; 4-byte Folded Spill
	buffer_store_dword v121, off, s[36:39], 0 offset:88 ; 4-byte Folded Spill
	;; [unrolled: 1-line block ×4, first 2 shown]
	v_fma_f64 v[13:14], v[13:14], v[88:89], -v[50:51]
	v_mul_f64 v[88:89], v[58:59], v[114:115]
	v_mul_f64 v[50:51], v[36:37], v[118:119]
	v_fma_f64 v[36:37], v[36:37], v[116:117], v[48:49]
	buffer_store_dword v116, off, s[36:39], 0 offset:68 ; 4-byte Folded Spill
	buffer_store_dword v117, off, s[36:39], 0 offset:72 ; 4-byte Folded Spill
	;; [unrolled: 1-line block ×4, first 2 shown]
	v_fma_f64 v[17:18], v[17:18], v[132:133], -v[82:83]
	v_fma_f64 v[60:61], v[60:61], v[140:141], v[92:93]
	v_fma_f64 v[21:22], v[21:22], v[124:125], -v[86:87]
	v_fma_f64 v[56:57], v[56:57], v[112:113], v[88:89]
	buffer_store_dword v112, off, s[36:39], 0 offset:52 ; 4-byte Folded Spill
	buffer_store_dword v113, off, s[36:39], 0 offset:56 ; 4-byte Folded Spill
	;; [unrolled: 1-line block ×24, first 2 shown]
	s_load_dwordx2 s[6:7], s[4:5], 0x38
	s_load_dwordx4 s[8:11], s[2:3], 0x0
	v_fma_f64 v[25:26], v[25:26], v[128:129], -v[42:43]
	v_fma_f64 v[34:35], v[34:35], v[120:121], -v[46:47]
	;; [unrolled: 1-line block ×9, first 2 shown]
	ds_write_b128 v30, v[3:6]
	ds_write_b128 v30, v[7:10] offset:13440
	ds_write_b128 v30, v[11:14] offset:1792
	ds_write_b128 v30, v[15:18] offset:15232
	ds_write_b128 v30, v[19:22] offset:3584
	ds_write_b128 v30, v[23:26] offset:17024
	ds_write_b128 v30, v[32:35] offset:5376
	ds_write_b128 v30, v[36:39] offset:18816
	ds_write_b128 v30, v[56:59] offset:7168
	ds_write_b128 v30, v[60:63] offset:20608
	ds_write_b128 v30, v[64:67] offset:8960
	ds_write_b128 v30, v[68:71] offset:22400
	ds_write_b128 v30, v[72:75] offset:10752
	ds_write_b128 v30, v[76:79] offset:24192
	s_and_saveexec_b32 s2, vcc_lo
	s_cbranch_execz .LBB0_3
; %bb.2:
	v_add_co_u32 v0, s0, v0, s0
	v_add_co_ci_u32_e64 v1, s0, s1, v1, s0
	v_add_co_u32 v8, s0, 0x6000, v28
	v_add_co_ci_u32_e64 v9, s0, 0, v29, s0
	;; [unrolled: 2-line block ×3, first 2 shown]
	global_load_dwordx4 v[0:3], v[0:1], off
	s_clause 0x1
	buffer_load_dword v4, off, s[36:39], 0 offset:4
	buffer_load_dword v5, off, s[36:39], 0 offset:8
	s_waitcnt vmcnt(0)
	s_clause 0x1
	global_load_dwordx4 v[4:7], v[4:5], off offset:256
	global_load_dwordx4 v[8:11], v[8:9], off offset:1408
	global_load_dwordx4 v[12:15], v[12:13], off
	s_waitcnt vmcnt(2)
	v_mul_f64 v[16:17], v[2:3], v[6:7]
	v_mul_f64 v[6:7], v[0:1], v[6:7]
	s_waitcnt vmcnt(0)
	v_mul_f64 v[18:19], v[14:15], v[10:11]
	v_mul_f64 v[10:11], v[12:13], v[10:11]
	v_fma_f64 v[0:1], v[0:1], v[4:5], v[16:17]
	v_fma_f64 v[2:3], v[2:3], v[4:5], -v[6:7]
	v_fma_f64 v[4:5], v[12:13], v[8:9], v[18:19]
	v_fma_f64 v[6:7], v[14:15], v[8:9], -v[10:11]
	ds_write_b128 v30, v[0:3] offset:12544
	ds_write_b128 v30, v[4:7] offset:25984
.LBB0_3:
	s_or_b32 exec_lo, exec_lo, s2
	s_waitcnt lgkmcnt(0)
	s_waitcnt_vscnt null, 0x0
	s_barrier
	buffer_gl0_inv
	ds_read_b128 v[56:59], v30
	ds_read_b128 v[0:3], v30 offset:1792
	ds_read_b128 v[8:11], v30 offset:15232
	;; [unrolled: 1-line block ×13, first 2 shown]
                                        ; implicit-def: $vgpr80_vgpr81
                                        ; implicit-def: $vgpr88_vgpr89
	s_and_saveexec_b32 s0, vcc_lo
	s_cbranch_execz .LBB0_5
; %bb.4:
	ds_read_b128 v[80:83], v30 offset:12544
	ds_read_b128 v[88:91], v30 offset:25984
.LBB0_5:
	s_or_b32 exec_lo, exec_lo, s0
	v_add_co_u32 v34, s0, 0x70, v31
	v_add_co_ci_u32_e64 v16, null, 0, 0, s0
	s_waitcnt lgkmcnt(3)
	v_add_f64 v[16:17], v[56:57], -v[12:13]
	v_add_f64 v[18:19], v[58:59], -v[14:15]
	;; [unrolled: 1-line block ×10, first 2 shown]
	s_waitcnt lgkmcnt(1)
	v_add_f64 v[96:97], v[68:69], -v[92:93]
	v_add_f64 v[98:99], v[70:71], -v[94:95]
	s_waitcnt lgkmcnt(0)
	v_add_f64 v[92:93], v[80:81], -v[88:89]
	v_add_f64 v[94:95], v[82:83], -v[90:91]
	;; [unrolled: 1-line block ×4, first 2 shown]
	s_load_dwordx2 s[2:3], s[4:5], 0x8
	v_add_co_u32 v33, null, 0xe0, v31
	v_lshlrev_b32_e32 v15, 5, v31
	v_add_co_u32 v13, null, 0x150, v31
	v_fma_f64 v[56:57], v[56:57], 2.0, -v[16:17]
	v_fma_f64 v[58:59], v[58:59], 2.0, -v[18:19]
	;; [unrolled: 1-line block ×16, first 2 shown]
	v_add_co_u32 v12, null, 0x1c0, v31
	v_lshlrev_b32_e32 v14, 1, v31
	s_waitcnt lgkmcnt(0)
	s_barrier
	buffer_gl0_inv
	v_lshlrev_b32_e32 v20, 5, v34
	ds_write_b128 v15, v[56:59]
	ds_write_b128 v15, v[16:19] offset:16
	v_lshlrev_b32_e32 v15, 5, v33
	v_add_co_u32 v21, null, 0x310, v31
	ds_write_b128 v20, v[0:3]
	ds_write_b128 v20, v[8:11] offset:16
	v_lshlrev_b32_e32 v0, 5, v13
	ds_write_b128 v15, v[64:67]
	buffer_store_dword v15, off, s[36:39], 0 offset:252 ; 4-byte Folded Spill
	ds_write_b128 v15, v[4:7] offset:16
	v_lshlrev_b32_e32 v1, 5, v12
	v_add_nc_u32_e32 v15, 0x460, v14
	v_add_nc_u32_e32 v16, 0x540, v14
	v_lshlrev_b32_e32 v17, 1, v34
	buffer_store_dword v20, off, s[36:39], 0 offset:248 ; 4-byte Folded Spill
	v_lshlrev_b32_e32 v20, 1, v33
	v_lshlrev_b32_e32 v19, 1, v13
	ds_write_b128 v0, v[88:91]
	buffer_store_dword v0, off, s[36:39], 0 offset:256 ; 4-byte Folded Spill
	ds_write_b128 v0, v[22:25] offset:16
	v_lshlrev_b32_e32 v18, 1, v12
	ds_write_b128 v1, v[72:75]
	v_lshlrev_b32_e32 v0, 4, v14
	v_lshlrev_b32_e32 v3, 4, v15
	buffer_store_dword v1, off, s[36:39], 0 offset:260 ; 4-byte Folded Spill
	ds_write_b128 v1, v[35:38] offset:16
	v_lshlrev_b32_e32 v2, 4, v16
	v_lshlrev_b32_e32 v1, 5, v21
	ds_write_b128 v0, v[68:71] offset:17920
	buffer_store_dword v3, off, s[36:39], 0 offset:268 ; 4-byte Folded Spill
	buffer_store_dword v1, off, s[36:39], 0 offset:376 ; 4-byte Folded Spill
	ds_write_b128 v3, v[96:99] offset:16
	ds_write_b128 v0, v[76:79] offset:21504
	buffer_store_dword v2, off, s[36:39], 0 offset:264 ; 4-byte Folded Spill
	ds_write_b128 v2, v[84:87] offset:16
	s_and_saveexec_b32 s0, vcc_lo
	s_cbranch_execz .LBB0_7
; %bb.6:
	v_lshlrev_b32_e32 v0, 5, v21
	ds_write_b128 v0, v[60:63]
	ds_write_b128 v0, v[92:95] offset:16
.LBB0_7:
	s_or_b32 exec_lo, exec_lo, s0
	s_waitcnt lgkmcnt(0)
	s_waitcnt_vscnt null, 0x0
	s_barrier
	buffer_gl0_inv
	ds_read_b128 v[64:67], v30
	ds_read_b128 v[68:71], v30 offset:1792
	ds_read_b128 v[0:3], v30 offset:15232
	;; [unrolled: 1-line block ×13, first 2 shown]
	s_and_saveexec_b32 s0, vcc_lo
	s_cbranch_execz .LBB0_9
; %bb.8:
	ds_read_b128 v[60:63], v30 offset:12544
	ds_read_b128 v[92:95], v30 offset:25984
.LBB0_9:
	s_or_b32 exec_lo, exec_lo, s0
	v_and_b32_e32 v54, 1, v31
	v_lshlrev_b32_e32 v22, 4, v54
	v_and_or_b32 v32, 0xfc, v14, v54
	v_and_or_b32 v51, 0x1fc, v17, v54
	;; [unrolled: 1-line block ×4, first 2 shown]
	global_load_dwordx4 v[56:59], v22, s[2:3]
	s_waitcnt vmcnt(0) lgkmcnt(3)
	v_mul_f64 v[22:23], v[10:11], v[58:59]
	v_mul_f64 v[24:25], v[8:9], v[58:59]
	;; [unrolled: 1-line block ×8, first 2 shown]
	s_waitcnt lgkmcnt(0)
	v_mul_f64 v[118:119], v[94:95], v[58:59]
	v_mul_f64 v[120:121], v[92:93], v[58:59]
	;; [unrolled: 1-line block ×8, first 2 shown]
	v_fma_f64 v[8:9], v[8:9], v[56:57], -v[22:23]
	v_fma_f64 v[10:11], v[10:11], v[56:57], v[24:25]
	v_fma_f64 v[22:23], v[0:1], v[56:57], -v[26:27]
	v_fma_f64 v[24:25], v[2:3], v[56:57], v[35:36]
	;; [unrolled: 2-line block ×8, first 2 shown]
	v_lshlrev_b32_e32 v0, 1, v21
	buffer_store_dword v0, off, s[36:39], 0 ; 4-byte Folded Spill
	v_add_f64 v[0:1], v[64:65], -v[8:9]
	v_add_f64 v[2:3], v[66:67], -v[10:11]
	v_add_f64 v[4:5], v[68:69], -v[22:23]
	v_add_f64 v[6:7], v[70:71], -v[24:25]
	v_add_f64 v[8:9], v[76:77], -v[26:27]
	v_add_f64 v[10:11], v[78:79], -v[35:36]
	v_add_f64 v[21:22], v[72:73], -v[37:38]
	v_add_f64 v[23:24], v[74:75], -v[39:40]
	v_add_f64 v[100:101], v[60:61], -v[100:101]
	v_add_f64 v[102:103], v[62:63], -v[102:103]
	v_add_f64 v[35:36], v[84:85], -v[41:42]
	v_add_f64 v[37:38], v[86:87], -v[43:44]
	v_add_f64 v[92:93], v[80:81], -v[45:46]
	v_add_f64 v[94:95], v[82:83], -v[47:48]
	v_add_f64 v[96:97], v[88:89], -v[49:50]
	v_add_f64 v[98:99], v[90:91], -v[98:99]
	v_and_or_b32 v25, 0x7fc, v18, v54
	v_and_or_b32 v26, 0x5fc, v15, v54
	;; [unrolled: 1-line block ×3, first 2 shown]
	v_lshlrev_b32_e32 v42, 4, v32
	v_lshlrev_b32_e32 v41, 4, v51
	;; [unrolled: 1-line block ×3, first 2 shown]
	v_fma_f64 v[64:65], v[64:65], 2.0, -v[0:1]
	v_fma_f64 v[66:67], v[66:67], 2.0, -v[2:3]
	v_fma_f64 v[68:69], v[68:69], 2.0, -v[4:5]
	v_fma_f64 v[70:71], v[70:71], 2.0, -v[6:7]
	v_fma_f64 v[76:77], v[76:77], 2.0, -v[8:9]
	v_fma_f64 v[78:79], v[78:79], 2.0, -v[10:11]
	v_fma_f64 v[72:73], v[72:73], 2.0, -v[21:22]
	v_fma_f64 v[74:75], v[74:75], 2.0, -v[23:24]
	v_fma_f64 v[60:61], v[60:61], 2.0, -v[100:101]
	v_fma_f64 v[62:63], v[62:63], 2.0, -v[102:103]
	v_fma_f64 v[84:85], v[84:85], 2.0, -v[35:36]
	v_fma_f64 v[86:87], v[86:87], 2.0, -v[37:38]
	v_fma_f64 v[80:81], v[80:81], 2.0, -v[92:93]
	v_fma_f64 v[82:83], v[82:83], 2.0, -v[94:95]
	v_fma_f64 v[88:89], v[88:89], 2.0, -v[96:97]
	v_fma_f64 v[90:91], v[90:91], 2.0, -v[98:99]
	v_lshlrev_b32_e32 v39, 4, v53
	v_lshlrev_b32_e32 v32, 4, v25
	;; [unrolled: 1-line block ×4, first 2 shown]
	s_waitcnt_vscnt null, 0x0
	s_barrier
	buffer_gl0_inv
	ds_write_b128 v42, v[0:3] offset:32
	buffer_store_dword v42, off, s[36:39], 0 offset:296 ; 4-byte Folded Spill
	ds_write_b128 v42, v[64:67]
	ds_write_b128 v41, v[68:71]
	buffer_store_dword v41, off, s[36:39], 0 offset:292 ; 4-byte Folded Spill
	ds_write_b128 v41, v[4:7] offset:32
	ds_write_b128 v40, v[76:79]
	buffer_store_dword v40, off, s[36:39], 0 offset:288 ; 4-byte Folded Spill
	ds_write_b128 v40, v[8:11] offset:32
	;; [unrolled: 3-line block ×6, first 2 shown]
	s_and_saveexec_b32 s0, vcc_lo
	s_cbranch_execz .LBB0_11
; %bb.10:
	buffer_load_dword v0, off, s[36:39], 0  ; 4-byte Folded Reload
	v_and_b32_e32 v1, 1, v31
	s_waitcnt vmcnt(0)
	v_and_or_b32 v0, 0x6fc, v0, v1
	v_lshlrev_b32_e32 v0, 4, v0
	ds_write_b128 v0, v[60:63]
	ds_write_b128 v0, v[100:103] offset:32
.LBB0_11:
	s_or_b32 exec_lo, exec_lo, s0
	s_waitcnt lgkmcnt(0)
	s_waitcnt_vscnt null, 0x0
	s_barrier
	buffer_gl0_inv
	ds_read_b128 v[68:71], v30
	ds_read_b128 v[76:79], v30 offset:1792
	ds_read_b128 v[0:3], v30 offset:15232
	;; [unrolled: 1-line block ×13, first 2 shown]
	s_and_saveexec_b32 s0, vcc_lo
	s_cbranch_execz .LBB0_13
; %bb.12:
	ds_read_b128 v[60:63], v30 offset:12544
	ds_read_b128 v[100:103], v30 offset:25984
.LBB0_13:
	s_or_b32 exec_lo, exec_lo, s0
	v_and_b32_e32 v53, 3, v31
	v_lshlrev_b32_e32 v21, 4, v53
	v_and_or_b32 v27, 0xf8, v14, v53
	v_and_or_b32 v32, 0x1f8, v17, v53
	;; [unrolled: 1-line block ×4, first 2 shown]
	global_load_dwordx4 v[64:67], v21, s[2:3] offset:32
	s_waitcnt vmcnt(0) lgkmcnt(0)
	s_barrier
	buffer_gl0_inv
	v_mul_f64 v[21:22], v[10:11], v[66:67]
	v_mul_f64 v[23:24], v[8:9], v[66:67]
	v_mul_f64 v[25:26], v[2:3], v[66:67]
	v_mul_f64 v[35:36], v[0:1], v[66:67]
	v_mul_f64 v[37:38], v[74:75], v[66:67]
	v_mul_f64 v[39:40], v[72:73], v[66:67]
	v_mul_f64 v[41:42], v[106:107], v[66:67]
	v_mul_f64 v[45:46], v[110:111], v[66:67]
	v_mul_f64 v[120:121], v[4:5], v[66:67]
	v_mul_f64 v[122:123], v[102:103], v[66:67]
	v_mul_f64 v[124:125], v[100:101], v[66:67]
	v_mul_f64 v[43:44], v[104:105], v[66:67]
	v_mul_f64 v[47:48], v[108:109], v[66:67]
	v_mul_f64 v[49:50], v[114:115], v[66:67]
	v_mul_f64 v[116:117], v[112:113], v[66:67]
	v_mul_f64 v[118:119], v[6:7], v[66:67]
	v_fma_f64 v[8:9], v[8:9], v[64:65], -v[21:22]
	v_fma_f64 v[10:11], v[10:11], v[64:65], v[23:24]
	v_fma_f64 v[21:22], v[0:1], v[64:65], -v[25:26]
	v_fma_f64 v[23:24], v[2:3], v[64:65], v[35:36]
	;; [unrolled: 2-line block ×3, first 2 shown]
	v_fma_f64 v[37:38], v[104:105], v[64:65], -v[41:42]
	v_fma_f64 v[41:42], v[108:109], v[64:65], -v[45:46]
	v_fma_f64 v[72:73], v[6:7], v[64:65], v[120:121]
	v_fma_f64 v[74:75], v[100:101], v[64:65], -v[122:123]
	v_fma_f64 v[108:109], v[102:103], v[64:65], v[124:125]
	v_fma_f64 v[39:40], v[106:107], v[64:65], v[43:44]
	;; [unrolled: 1-line block ×3, first 2 shown]
	v_fma_f64 v[45:46], v[112:113], v[64:65], -v[49:50]
	v_fma_f64 v[47:48], v[114:115], v[64:65], v[116:117]
	v_fma_f64 v[49:50], v[4:5], v[64:65], -v[118:119]
	v_add_f64 v[0:1], v[68:69], -v[8:9]
	v_add_f64 v[2:3], v[70:71], -v[10:11]
	;; [unrolled: 1-line block ×16, first 2 shown]
	v_and_or_b32 v25, 0x7f8, v18, v53
	v_and_or_b32 v26, 0x5f8, v15, v53
	v_and_or_b32 v39, 0x7f8, v16, v53
	v_lshlrev_b32_e32 v42, 4, v27
	v_lshlrev_b32_e32 v41, 4, v32
	;; [unrolled: 1-line block ×3, first 2 shown]
	v_fma_f64 v[108:109], v[68:69], 2.0, -v[0:1]
	v_fma_f64 v[110:111], v[70:71], 2.0, -v[2:3]
	;; [unrolled: 1-line block ×16, first 2 shown]
	v_lshlrev_b32_e32 v32, 4, v52
	v_lshlrev_b32_e32 v27, 4, v25
	;; [unrolled: 1-line block ×4, first 2 shown]
	ds_write_b128 v42, v[0:3] offset:64
	buffer_store_dword v42, off, s[36:39], 0 offset:324 ; 4-byte Folded Spill
	ds_write_b128 v42, v[108:111]
	ds_write_b128 v41, v[76:79]
	buffer_store_dword v41, off, s[36:39], 0 offset:320 ; 4-byte Folded Spill
	ds_write_b128 v41, v[4:7] offset:64
	ds_write_b128 v40, v[84:87]
	buffer_store_dword v40, off, s[36:39], 0 offset:316 ; 4-byte Folded Spill
	ds_write_b128 v40, v[8:11] offset:64
	;; [unrolled: 3-line block ×6, first 2 shown]
	s_and_saveexec_b32 s0, vcc_lo
	s_cbranch_execz .LBB0_15
; %bb.14:
	buffer_load_dword v0, off, s[36:39], 0  ; 4-byte Folded Reload
	v_and_b32_e32 v1, 3, v31
	s_waitcnt vmcnt(0)
	v_and_or_b32 v0, 0x6f8, v0, v1
	v_lshlrev_b32_e32 v0, 4, v0
	ds_write_b128 v0, v[68:71]
	ds_write_b128 v0, v[72:75] offset:64
.LBB0_15:
	s_or_b32 exec_lo, exec_lo, s0
	s_waitcnt lgkmcnt(0)
	s_waitcnt_vscnt null, 0x0
	s_barrier
	buffer_gl0_inv
	ds_read_b128 v[76:79], v30
	ds_read_b128 v[80:83], v30 offset:1792
	ds_read_b128 v[0:3], v30 offset:15232
	;; [unrolled: 1-line block ×13, first 2 shown]
	s_and_saveexec_b32 s0, vcc_lo
	s_cbranch_execz .LBB0_17
; %bb.16:
	ds_read_b128 v[68:71], v30 offset:12544
	ds_read_b128 v[72:75], v30 offset:25984
.LBB0_17:
	s_or_b32 exec_lo, exec_lo, s0
	v_and_b32_e32 v53, 7, v31
	v_lshlrev_b32_e32 v21, 4, v53
	v_and_or_b32 v51, 0x3f0, v20, v53
	v_and_or_b32 v52, 0x3f0, v19, v53
	;; [unrolled: 1-line block ×4, first 2 shown]
	global_load_dwordx4 v[60:63], v21, s[2:3] offset:96
	v_and_or_b32 v18, 0x7f0, v18, v53
	s_waitcnt vmcnt(0) lgkmcnt(0)
	s_barrier
	buffer_gl0_inv
	v_mul_f64 v[21:22], v[10:11], v[62:63]
	v_mul_f64 v[23:24], v[8:9], v[62:63]
	;; [unrolled: 1-line block ×14, first 2 shown]
	v_fma_f64 v[8:9], v[8:9], v[60:61], -v[21:22]
	v_fma_f64 v[10:11], v[10:11], v[60:61], v[23:24]
	v_fma_f64 v[21:22], v[0:1], v[60:61], -v[25:26]
	v_fma_f64 v[23:24], v[2:3], v[60:61], v[35:36]
	;; [unrolled: 2-line block ×5, first 2 shown]
	v_mul_f64 v[108:109], v[74:75], v[62:63]
	v_mul_f64 v[110:111], v[72:73], v[62:63]
	v_fma_f64 v[45:46], v[116:117], v[60:61], -v[49:50]
	v_fma_f64 v[47:48], v[118:119], v[60:61], v[120:121]
	v_fma_f64 v[49:50], v[112:113], v[60:61], -v[122:123]
	v_fma_f64 v[106:107], v[114:115], v[60:61], v[124:125]
	v_add_f64 v[0:1], v[76:77], -v[8:9]
	v_add_f64 v[2:3], v[78:79], -v[10:11]
	;; [unrolled: 1-line block ×10, first 2 shown]
	v_fma_f64 v[39:40], v[72:73], v[60:61], -v[108:109]
	v_fma_f64 v[41:42], v[74:75], v[60:61], v[110:111]
	v_add_f64 v[35:36], v[92:93], -v[45:46]
	v_add_f64 v[37:38], v[94:95], -v[47:48]
	;; [unrolled: 1-line block ×4, first 2 shown]
	v_and_or_b32 v43, 0x5f0, v15, v53
	v_and_or_b32 v44, 0x7f0, v16, v53
	v_fma_f64 v[14:15], v[76:77], 2.0, -v[0:1]
	v_fma_f64 v[16:17], v[78:79], 2.0, -v[2:3]
	;; [unrolled: 1-line block ×10, first 2 shown]
	v_add_f64 v[72:73], v[68:69], -v[39:40]
	v_add_f64 v[74:75], v[70:71], -v[41:42]
	v_fma_f64 v[92:93], v[92:93], 2.0, -v[35:36]
	v_fma_f64 v[94:95], v[94:95], 2.0, -v[37:38]
	;; [unrolled: 1-line block ×4, first 2 shown]
	v_lshlrev_b32_e32 v42, 4, v27
	v_lshlrev_b32_e32 v41, 4, v32
	v_lshlrev_b32_e32 v40, 4, v51
	v_lshlrev_b32_e32 v39, 4, v52
	v_lshlrev_b32_e32 v32, 4, v18
	v_lshlrev_b32_e32 v27, 4, v43
	v_lshlrev_b32_e32 v18, 4, v44
	ds_write_b128 v42, v[0:3] offset:128
	buffer_store_dword v42, off, s[36:39], 0 offset:352 ; 4-byte Folded Spill
	ds_write_b128 v42, v[14:17]
	ds_write_b128 v41, v[76:79]
	buffer_store_dword v41, off, s[36:39], 0 offset:348 ; 4-byte Folded Spill
	ds_write_b128 v41, v[4:7] offset:128
	ds_write_b128 v40, v[80:83]
	buffer_store_dword v40, off, s[36:39], 0 offset:344 ; 4-byte Folded Spill
	ds_write_b128 v40, v[8:11] offset:128
	;; [unrolled: 3-line block ×6, first 2 shown]
	s_and_saveexec_b32 s0, vcc_lo
	s_cbranch_execz .LBB0_19
; %bb.18:
	buffer_load_dword v4, off, s[36:39], 0  ; 4-byte Folded Reload
	v_fma_f64 v[2:3], v[70:71], 2.0, -v[74:75]
	v_fma_f64 v[0:1], v[68:69], 2.0, -v[72:73]
	v_and_b32_e32 v5, 7, v31
	s_waitcnt vmcnt(0)
	v_and_or_b32 v4, 0x6f0, v4, v5
	v_lshlrev_b32_e32 v4, 4, v4
	ds_write_b128 v4, v[0:3]
	ds_write_b128 v4, v[72:75] offset:128
.LBB0_19:
	s_or_b32 exec_lo, exec_lo, s0
	v_and_b32_e32 v32, 15, v31
	s_waitcnt lgkmcnt(0)
	s_waitcnt_vscnt null, 0x0
	s_barrier
	buffer_gl0_inv
	v_lshrrev_b32_e32 v26, 4, v31
	v_lshlrev_b32_e32 v0, 5, v32
	v_lshrrev_b32_e32 v27, 4, v34
	v_lshrrev_b32_e32 v39, 4, v33
	;; [unrolled: 1-line block ×4, first 2 shown]
	s_clause 0x1
	global_load_dwordx4 v[92:95], v0, s[2:3] offset:224
	global_load_dwordx4 v[88:91], v0, s[2:3] offset:240
	ds_read_b128 v[0:3], v30
	ds_read_b128 v[4:7], v30 offset:1792
	ds_read_b128 v[8:11], v30 offset:17920
	ds_read_b128 v[14:17], v30 offset:19712
	ds_read_b128 v[18:21], v30 offset:10752
	ds_read_b128 v[22:25], v30 offset:12544
	ds_read_b128 v[35:38], v30 offset:3584
	ds_read_b128 v[68:71], v30 offset:5376
	ds_read_b128 v[76:79], v30 offset:21504
	ds_read_b128 v[80:83], v30 offset:23296
	ds_read_b128 v[84:87], v30 offset:8960
	ds_read_b128 v[96:99], v30 offset:7168
	ds_read_b128 v[100:103], v30 offset:14336
	ds_read_b128 v[104:107], v30 offset:16128
	ds_read_b128 v[108:111], v30 offset:25088
	v_mul_u32_u24_e32 v51, 48, v26
	v_mul_u32_u24_e32 v52, 48, v27
	;; [unrolled: 1-line block ×5, first 2 shown]
	s_mov_b32 s0, 0xe8584caa
	s_mov_b32 s1, 0x3febb67a
	;; [unrolled: 1-line block ×4, first 2 shown]
	v_or_b32_e32 v51, v51, v32
	v_or_b32_e32 v52, v52, v32
	;; [unrolled: 1-line block ×3, first 2 shown]
	s_waitcnt vmcnt(0) lgkmcnt(0)
	s_barrier
	buffer_gl0_inv
                                        ; implicit-def: $vgpr160_vgpr161
	v_mul_f64 v[12:13], v[86:87], v[94:95]
	v_mul_f64 v[26:27], v[84:85], v[94:95]
	v_mul_f64 v[39:40], v[10:11], v[90:91]
	v_mul_f64 v[41:42], v[8:9], v[90:91]
	v_mul_f64 v[43:44], v[20:21], v[94:95]
	v_mul_f64 v[45:46], v[18:19], v[94:95]
	v_mul_f64 v[47:48], v[16:17], v[90:91]
	v_mul_f64 v[49:50], v[14:15], v[90:91]
	v_mul_f64 v[112:113], v[24:25], v[94:95]
	v_mul_f64 v[114:115], v[22:23], v[94:95]
	v_mul_f64 v[116:117], v[78:79], v[90:91]
	v_mul_f64 v[118:119], v[76:77], v[90:91]
	v_mul_f64 v[120:121], v[102:103], v[94:95]
	v_mul_f64 v[122:123], v[100:101], v[94:95]
	v_mul_f64 v[124:125], v[82:83], v[90:91]
	v_mul_f64 v[126:127], v[80:81], v[90:91]
	v_mul_f64 v[128:129], v[106:107], v[94:95]
	v_mul_f64 v[130:131], v[104:105], v[94:95]
	v_mul_f64 v[132:133], v[110:111], v[90:91]
	v_mul_f64 v[134:135], v[108:109], v[90:91]
	v_fma_f64 v[12:13], v[84:85], v[92:93], -v[12:13]
	v_fma_f64 v[26:27], v[86:87], v[92:93], v[26:27]
	v_fma_f64 v[8:9], v[8:9], v[88:89], -v[39:40]
	v_fma_f64 v[10:11], v[10:11], v[88:89], v[41:42]
	;; [unrolled: 2-line block ×10, first 2 shown]
	v_add_f64 v[84:85], v[0:1], v[12:13]
	v_add_f64 v[102:103], v[2:3], v[26:27]
	;; [unrolled: 1-line block ×3, first 2 shown]
	v_add_f64 v[100:101], v[26:27], -v[10:11]
	v_add_f64 v[26:27], v[26:27], v[10:11]
	v_add_f64 v[104:105], v[12:13], -v[8:9]
	v_add_f64 v[12:13], v[4:5], v[18:19]
	v_add_f64 v[106:107], v[18:19], v[14:15]
	v_add_f64 v[108:109], v[20:21], -v[16:17]
	v_add_f64 v[110:111], v[6:7], v[20:21]
	;; [unrolled: 3-line block ×5, first 2 shown]
	v_add_f64 v[122:123], v[68:69], v[43:44]
	v_add_f64 v[124:125], v[45:46], v[49:50]
	;; [unrolled: 1-line block ×4, first 2 shown]
	v_add_f64 v[126:127], v[45:46], -v[49:50]
	v_add_f64 v[43:44], v[43:44], -v[47:48]
	v_add_f64 v[132:133], v[96:97], v[76:77]
	v_add_f64 v[134:135], v[98:99], v[78:79]
	v_fma_f64 v[86:87], v[86:87], -0.5, v[0:1]
	v_add_f64 v[136:137], v[78:79], -v[82:83]
	v_fma_f64 v[26:27], v[26:27], -0.5, v[2:3]
	v_add_f64 v[138:139], v[76:77], -v[80:81]
	v_fma_f64 v[76:77], v[106:107], -0.5, v[4:5]
	v_add_f64 v[0:1], v[84:85], v[8:9]
	v_fma_f64 v[78:79], v[20:21], -0.5, v[6:7]
	v_add_f64 v[2:3], v[102:103], v[10:11]
	;; [unrolled: 2-line block ×3, first 2 shown]
	v_add_f64 v[8:9], v[18:19], v[39:40]
	v_fma_f64 v[102:103], v[24:25], -0.5, v[37:38]
	v_add_f64 v[10:11], v[118:119], v[41:42]
	v_fma_f64 v[106:107], v[22:23], -0.5, v[68:69]
	;; [unrolled: 2-line block ×3, first 2 shown]
	v_fma_f64 v[41:42], v[128:129], -0.5, v[96:97]
	v_fma_f64 v[47:48], v[130:131], -0.5, v[98:99]
	v_add_f64 v[45:46], v[70:71], v[45:46]
	v_add_f64 v[6:7], v[110:111], v[16:17]
	;; [unrolled: 1-line block ×4, first 2 shown]
	v_fma_f64 v[24:25], v[100:101], s[4:5], v[86:87]
	v_fma_f64 v[20:21], v[100:101], s[0:1], v[86:87]
	;; [unrolled: 1-line block ×17, first 2 shown]
	v_add_f64 v[14:15], v[45:46], v[49:50]
	v_fma_f64 v[86:87], v[43:44], s[4:5], v[39:40]
	v_fma_f64 v[100:101], v[136:137], s[0:1], v[41:42]
	;; [unrolled: 1-line block ×3, first 2 shown]
	v_or_b32_e32 v39, v54, v32
	v_or_b32_e32 v32, v55, v32
	v_lshlrev_b32_e32 v42, 4, v51
	v_lshlrev_b32_e32 v41, 4, v52
	;; [unrolled: 1-line block ×5, first 2 shown]
	ds_write_b128 v42, v[0:3]
	ds_write_b128 v42, v[20:23] offset:256
	buffer_store_dword v42, off, s[36:39], 0 offset:372 ; 4-byte Folded Spill
	ds_write_b128 v42, v[24:27] offset:512
	ds_write_b128 v41, v[4:7]
	ds_write_b128 v41, v[35:38] offset:256
	buffer_store_dword v41, off, s[36:39], 0 offset:368 ; 4-byte Folded Spill
	ds_write_b128 v41, v[68:71] offset:512
	;; [unrolled: 4-line block ×5, first 2 shown]
	s_waitcnt lgkmcnt(0)
	s_waitcnt_vscnt null, 0x0
	s_barrier
	buffer_gl0_inv
	ds_read_b128 v[156:159], v30
	ds_read_b128 v[152:155], v30 offset:1792
	ds_read_b128 v[180:183], v30 offset:3840
	;; [unrolled: 1-line block ×13, first 2 shown]
	v_cmp_gt_u16_e64 s0, 16, v31
                                        ; implicit-def: $vgpr76_vgpr77
                                        ; implicit-def: $vgpr80_vgpr81
                                        ; implicit-def: $vgpr84_vgpr85
                                        ; implicit-def: $vgpr96_vgpr97
	s_and_saveexec_b32 s1, s0
	s_cbranch_execz .LBB0_21
; %bb.20:
	ds_read_b128 v[148:151], v30 offset:3584
	ds_read_b128 v[72:75], v30 offset:7424
	;; [unrolled: 1-line block ×7, first 2 shown]
.LBB0_21:
	s_or_b32 exec_lo, exec_lo, s1
	v_and_b32_e32 v0, 0xff, v31
	v_and_b32_e32 v16, 0xff, v34
	v_mov_b32_e32 v51, 0x150
	s_mov_b32 s14, 0xaaaaaaaa
	s_mov_b32 s20, 0xe976ee23
	v_mul_lo_u16 v0, 0xab, v0
	v_mul_lo_u16 v16, 0xab, v16
	s_mov_b32 s15, 0xbff2aaaa
	s_mov_b32 s21, 0xbfe11646
	;; [unrolled: 1-line block ×3, first 2 shown]
	v_lshrrev_b16 v32, 13, v0
	v_lshrrev_b16 v36, 13, v16
	s_mov_b32 s16, 0x429ad128
	s_mov_b32 s5, 0x3fac98ee
	;; [unrolled: 1-line block ×3, first 2 shown]
	v_mul_lo_u16 v0, v32, 48
	v_mul_lo_u16 v18, v36, 48
	v_mul_u32_u24_sdwa v32, v32, v51 dst_sel:DWORD dst_unused:UNUSED_PAD src0_sel:WORD_0 src1_sel:DWORD
	s_mov_b32 s18, 0x5476071b
	s_mov_b32 s12, 0x37c3f68c
	v_sub_nc_u16 v0, v31, v0
	s_mov_b32 s19, 0x3fe77f67
	s_mov_b32 s13, 0x3fdc38aa
	;; [unrolled: 1-line block ×4, first 2 shown]
	v_and_b32_e32 v37, 0xff, v0
	s_mov_b32 s22, 0xb247c609
	s_mov_b32 s27, 0xbfe77f67
	;; [unrolled: 1-line block ×4, first 2 shown]
	v_mad_u64_u32 v[0:1], null, 0x60, v37, s[2:3]
	v_add_lshl_u32 v32, v32, v37, 4
	s_mov_b32 s28, s22
	s_mov_b32 s26, s18
	s_clause 0x5
	global_load_dwordx4 v[112:115], v[0:1], off offset:736
	global_load_dwordx4 v[108:111], v[0:1], off offset:752
	;; [unrolled: 1-line block ×6, first 2 shown]
	s_waitcnt vmcnt(5) lgkmcnt(11)
	v_mul_f64 v[0:1], v[182:183], v[114:115]
	v_mul_f64 v[4:5], v[180:181], v[114:115]
	s_waitcnt vmcnt(4) lgkmcnt(9)
	v_mul_f64 v[8:9], v[176:177], v[110:111]
	s_waitcnt vmcnt(3) lgkmcnt(7)
	;; [unrolled: 2-line block ×3, first 2 shown]
	v_mul_f64 v[14:15], v[170:171], v[102:103]
	v_mul_f64 v[10:11], v[174:175], v[106:107]
	s_waitcnt vmcnt(1) lgkmcnt(3)
	v_mul_f64 v[16:17], v[166:167], v[118:119]
	v_mul_f64 v[6:7], v[178:179], v[110:111]
	v_fma_f64 v[2:3], v[180:181], v[112:113], -v[0:1]
	v_fma_f64 v[0:1], v[182:183], v[112:113], v[4:5]
	v_fma_f64 v[4:5], v[178:179], v[108:109], v[8:9]
	v_mul_f64 v[8:9], v[168:169], v[102:103]
	v_fma_f64 v[180:181], v[174:175], v[104:105], v[12:13]
	s_waitcnt vmcnt(0) lgkmcnt(1)
	v_mul_f64 v[12:13], v[132:133], v[122:123]
	v_fma_f64 v[186:187], v[168:169], v[100:101], -v[14:15]
	v_sub_nc_u16 v14, v34, v18
	v_fma_f64 v[182:183], v[172:173], v[104:105], -v[10:11]
	v_mul_f64 v[10:11], v[164:165], v[118:119]
	v_fma_f64 v[192:193], v[164:165], v[116:117], -v[16:17]
	v_fma_f64 v[6:7], v[176:177], v[108:109], -v[6:7]
	v_and_b32_e32 v35, 0xff, v14
	v_mad_u64_u32 v[24:25], null, 0x60, v35, s[2:3]
	v_fma_f64 v[184:185], v[170:171], v[100:101], v[8:9]
	v_mul_f64 v[8:9], v[134:135], v[122:123]
	v_fma_f64 v[190:191], v[134:135], v[120:121], v[12:13]
	v_add_f64 v[196:197], v[182:183], v[186:187]
	v_fma_f64 v[188:189], v[166:167], v[116:117], v[10:11]
	v_add_f64 v[198:199], v[6:7], v[192:193]
	v_add_f64 v[6:7], v[6:7], -v[192:193]
	v_add_f64 v[224:225], v[180:181], v[184:185]
	v_fma_f64 v[194:195], v[132:133], v[120:121], -v[8:9]
	global_load_dwordx4 v[132:135], v[24:25], off offset:736
	v_add_f64 v[222:223], v[0:1], v[190:191]
	v_add_f64 v[45:46], v[184:185], -v[180:181]
	v_add_f64 v[47:48], v[0:1], -v[190:191]
	v_add_f64 v[226:227], v[4:5], v[188:189]
	v_add_f64 v[43:44], v[2:3], -v[194:195]
	s_waitcnt vmcnt(0)
	v_mul_f64 v[8:9], v[138:139], v[134:135]
	v_fma_f64 v[10:11], v[136:137], v[132:133], -v[8:9]
	v_mul_f64 v[8:9], v[136:137], v[134:135]
	v_fma_f64 v[8:9], v[138:139], v[132:133], v[8:9]
	global_load_dwordx4 v[136:139], v[24:25], off offset:752
	s_waitcnt vmcnt(0)
	v_mul_f64 v[12:13], v[126:127], v[138:139]
	v_fma_f64 v[14:15], v[124:125], v[136:137], -v[12:13]
	v_mul_f64 v[12:13], v[124:125], v[138:139]
	v_fma_f64 v[12:13], v[126:127], v[136:137], v[12:13]
	global_load_dwordx4 v[124:127], v[24:25], off offset:768
	s_waitcnt vmcnt(0)
	v_mul_f64 v[16:17], v[130:131], v[126:127]
	v_fma_f64 v[18:19], v[128:129], v[124:125], -v[16:17]
	v_mul_f64 v[16:17], v[128:129], v[126:127]
	v_fma_f64 v[16:17], v[130:131], v[124:125], v[16:17]
	global_load_dwordx4 v[128:131], v[24:25], off offset:784
	s_waitcnt vmcnt(0)
	v_mul_f64 v[20:21], v[142:143], v[130:131]
	v_fma_f64 v[22:23], v[140:141], v[128:129], -v[20:21]
	v_mul_f64 v[20:21], v[140:141], v[130:131]
	v_add_f64 v[234:235], v[18:19], v[22:23]
	v_fma_f64 v[20:21], v[142:143], v[128:129], v[20:21]
	global_load_dwordx4 v[140:143], v[24:25], off offset:800
	v_add_f64 v[18:19], v[22:23], -v[18:19]
	v_add_f64 v[240:241], v[16:17], v[20:21]
	v_add_f64 v[16:17], v[20:21], -v[16:17]
	s_waitcnt vmcnt(0)
	v_mul_f64 v[26:27], v[146:147], v[142:143]
	v_fma_f64 v[166:167], v[144:145], v[140:141], -v[26:27]
	v_mul_f64 v[26:27], v[144:145], v[142:143]
	v_add_f64 v[236:237], v[14:15], v[166:167]
	v_fma_f64 v[164:165], v[146:147], v[140:141], v[26:27]
	global_load_dwordx4 v[144:147], v[24:25], off offset:816
	v_add_f64 v[14:15], v[14:15], -v[166:167]
	v_add_f64 v[22:23], v[234:235], -v[236:237]
	v_add_f64 v[246:247], v[12:13], v[164:165]
	v_add_f64 v[12:13], v[12:13], -v[164:165]
	s_waitcnt vmcnt(0) lgkmcnt(0)
	v_mul_f64 v[24:25], v[70:71], v[146:147]
	v_fma_f64 v[178:179], v[68:69], v[144:145], -v[24:25]
	v_mul_f64 v[24:25], v[68:69], v[146:147]
	v_add_f64 v[232:233], v[10:11], v[178:179]
	v_fma_f64 v[176:177], v[70:71], v[144:145], v[24:25]
	v_mov_b32_e32 v24, 0xaaab
	v_add_f64 v[10:11], v[10:11], -v[178:179]
	v_mul_u32_u24_sdwa v24, v33, v24 dst_sel:DWORD dst_unused:UNUSED_PAD src0_sel:WORD_0 src1_sel:DWORD
	v_lshrrev_b32_e32 v24, 21, v24
	v_mul_lo_u16 v24, v24, 48
	v_sub_nc_u16 v24, v33, v24
	v_add_f64 v[238:239], v[8:9], v[176:177]
	v_add_f64 v[8:9], v[8:9], -v[176:177]
	v_add_f64 v[20:21], v[236:237], -v[232:233]
	buffer_store_dword v24, off, s[36:39], 0 offset:244 ; 4-byte Folded Spill
	v_mul_lo_u16 v24, 0x60, v24
	v_and_b32_e32 v24, 0xffff, v24
	v_add_co_u32 v24, s1, s2, v24
	v_add_co_ci_u32_e64 v25, null, s3, 0, s1
	global_load_dwordx4 v[38:41], v[24:25], off offset:736
	s_waitcnt vmcnt(0)
	v_mul_f64 v[26:27], v[74:75], v[40:41]
	v_fma_f64 v[202:203], v[72:73], v[38:39], -v[26:27]
	v_mul_f64 v[26:27], v[72:73], v[40:41]
	buffer_store_dword v38, off, s[36:39], 0 offset:380 ; 4-byte Folded Spill
	buffer_store_dword v39, off, s[36:39], 0 offset:384 ; 4-byte Folded Spill
	;; [unrolled: 1-line block ×4, first 2 shown]
	v_fma_f64 v[200:201], v[74:75], v[38:39], v[26:27]
	global_load_dwordx4 v[38:41], v[24:25], off offset:752
	s_waitcnt vmcnt(0)
	v_mul_f64 v[26:27], v[78:79], v[40:41]
	v_fma_f64 v[206:207], v[76:77], v[38:39], -v[26:27]
	v_mul_f64 v[26:27], v[76:77], v[40:41]
	buffer_store_dword v38, off, s[36:39], 0 offset:396 ; 4-byte Folded Spill
	buffer_store_dword v39, off, s[36:39], 0 offset:400 ; 4-byte Folded Spill
	;; [unrolled: 1-line block ×4, first 2 shown]
	v_add_f64 v[41:42], v[186:187], -v[182:183]
	v_add_f64 v[0:1], v[41:42], v[6:7]
	v_add_f64 v[184:185], v[0:1], v[43:44]
	v_fma_f64 v[204:205], v[78:79], v[38:39], v[26:27]
	global_load_dwordx4 v[76:79], v[24:25], off offset:768
	s_waitcnt vmcnt(0)
	v_mul_f64 v[26:27], v[82:83], v[78:79]
	v_fma_f64 v[210:211], v[80:81], v[76:77], -v[26:27]
	v_mul_f64 v[26:27], v[80:81], v[78:79]
	v_fma_f64 v[208:209], v[82:83], v[76:77], v[26:27]
	global_load_dwordx4 v[80:83], v[24:25], off offset:784
	s_waitcnt vmcnt(0)
	v_mul_f64 v[26:27], v[86:87], v[82:83]
	v_fma_f64 v[214:215], v[84:85], v[80:81], -v[26:27]
	v_mul_f64 v[26:27], v[84:85], v[82:83]
	v_add_f64 v[250:251], v[210:211], v[214:215]
	v_fma_f64 v[212:213], v[86:87], v[80:81], v[26:27]
	global_load_dwordx4 v[84:87], v[24:25], off offset:800
	v_add_f64 v[254:255], v[208:209], v[212:213]
	s_waitcnt vmcnt(0)
	v_mul_f64 v[26:27], v[98:99], v[86:87]
	v_fma_f64 v[218:219], v[96:97], v[84:85], -v[26:27]
	v_mul_f64 v[26:27], v[96:97], v[86:87]
	v_fma_f64 v[216:217], v[98:99], v[84:85], v[26:27]
	global_load_dwordx4 v[96:99], v[24:25], off offset:816
	s_waitcnt vmcnt(0)
	s_waitcnt_vscnt null, 0x0
	s_barrier
	buffer_gl0_inv
	v_add_f64 v[26:27], v[204:205], v[216:217]
	v_mul_f64 v[24:25], v[162:163], v[98:99]
	v_fma_f64 v[220:221], v[160:161], v[96:97], -v[24:25]
	v_mul_f64 v[24:25], v[160:161], v[98:99]
	v_add_f64 v[248:249], v[202:203], v[220:221]
	v_fma_f64 v[160:161], v[162:163], v[96:97], v[24:25]
	v_add_f64 v[162:163], v[2:3], v[194:195]
	v_add_f64 v[2:3], v[4:5], -v[188:189]
	v_add_f64 v[4:5], v[41:42], -v[6:7]
	;; [unrolled: 1-line block ×3, first 2 shown]
	v_add_f64 v[252:253], v[200:201], v[160:161]
	v_add_f64 v[24:25], v[198:199], v[162:163]
	v_add_f64 v[180:181], v[45:46], -v[2:3]
	v_mul_f64 v[188:189], v[4:5], s[20:21]
	v_add_f64 v[49:50], v[198:199], -v[162:163]
	v_add_f64 v[182:183], v[2:3], -v[47:48]
	;; [unrolled: 1-line block ×3, first 2 shown]
	v_add_f64 v[228:229], v[196:197], v[24:25]
	v_add_f64 v[24:25], v[226:227], v[222:223]
	v_mul_f64 v[180:181], v[180:181], s[20:21]
	v_add_f64 v[156:157], v[156:157], v[228:229]
	v_add_f64 v[230:231], v[224:225], v[24:25]
	;; [unrolled: 1-line block ×3, first 2 shown]
	v_fma_f64 v[37:38], v[228:229], s[14:15], v[156:157]
	v_add_f64 v[158:159], v[158:159], v[230:231]
	v_add_f64 v[242:243], v[234:235], v[24:25]
	;; [unrolled: 1-line block ×3, first 2 shown]
	v_fma_f64 v[39:40], v[230:231], s[14:15], v[158:159]
	v_add_f64 v[168:169], v[152:153], v[242:243]
	v_add_f64 v[152:153], v[206:207], v[218:219]
	;; [unrolled: 1-line block ×3, first 2 shown]
	ds_write_b128 v32, v[156:159]
	v_add_f64 v[158:159], v[6:7], -v[43:44]
	v_add_f64 v[6:7], v[45:46], v[2:3]
	v_add_f64 v[156:157], v[224:225], -v[226:227]
	v_add_f64 v[43:44], v[47:48], -v[45:46]
	v_fma_f64 v[164:165], v[242:243], s[14:15], v[168:169]
	v_add_f64 v[24:25], v[152:153], v[248:249]
	v_add_f64 v[170:171], v[154:155], v[244:245]
	v_fma_f64 v[4:5], v[158:159], s[16:17], -v[188:189]
	v_add_f64 v[186:187], v[6:7], v[47:48]
	v_mul_f64 v[2:3], v[156:157], s[4:5]
	v_mul_f64 v[45:46], v[158:159], s[16:17]
	;; [unrolled: 1-line block ×4, first 2 shown]
	v_add_f64 v[154:155], v[250:251], v[24:25]
	v_add_f64 v[24:25], v[26:27], v[252:253]
	v_fma_f64 v[166:167], v[244:245], s[14:15], v[170:171]
	v_fma_f64 v[6:7], v[184:185], s[12:13], v[4:5]
	v_fma_f64 v[4:5], v[182:183], s[16:17], -v[180:181]
	v_fma_f64 v[45:46], v[41:42], s[28:29], -v[45:46]
	;; [unrolled: 1-line block ×3, first 2 shown]
	v_fma_f64 v[41:42], v[41:42], s[22:23], v[188:189]
	v_fma_f64 v[43:44], v[43:44], s[22:23], v[180:181]
	v_add_f64 v[172:173], v[148:149], v[154:155]
	v_add_f64 v[148:149], v[196:197], -v[198:199]
	v_add_f64 v[24:25], v[254:255], v[24:25]
	v_fma_f64 v[4:5], v[186:187], s[12:13], v[4:5]
	v_fma_f64 v[45:46], v[184:185], s[12:13], v[45:46]
	;; [unrolled: 1-line block ×3, first 2 shown]
	v_mul_f64 v[0:1], v[148:149], s[4:5]
	v_add_f64 v[174:175], v[150:151], v[24:25]
	v_add_f64 v[150:151], v[226:227], -v[222:223]
	v_fma_f64 v[0:1], v[49:50], s[18:19], -v[0:1]
	v_fma_f64 v[49:50], v[49:50], s[26:27], -v[158:159]
	;; [unrolled: 1-line block ×3, first 2 shown]
	v_fma_f64 v[24:25], v[24:25], s[14:15], v[174:175]
	v_add_f64 v[190:191], v[0:1], v[37:38]
	v_add_f64 v[49:50], v[49:50], v[37:38]
	;; [unrolled: 1-line block ×3, first 2 shown]
	v_add_f64 v[0:1], v[190:191], -v[4:5]
	v_add_f64 v[4:5], v[4:5], v[190:191]
	v_add_f64 v[190:191], v[222:223], -v[224:225]
	v_add_f64 v[222:223], v[47:48], v[49:50]
	v_add_f64 v[226:227], v[49:50], -v[47:48]
	v_fma_f64 v[49:50], v[184:185], s[12:13], v[41:42]
	v_fma_f64 v[41:42], v[186:187], s[12:13], v[43:44]
	v_add_f64 v[2:3], v[6:7], v[192:193]
	v_add_f64 v[6:7], v[192:193], -v[6:7]
	v_mul_f64 v[162:163], v[190:191], s[24:25]
	v_fma_f64 v[150:151], v[150:151], s[26:27], -v[162:163]
	v_fma_f64 v[47:48], v[156:157], s[4:5], v[162:163]
	v_add_f64 v[156:157], v[16:17], -v[12:13]
	v_add_f64 v[150:151], v[150:151], v[39:40]
	v_mul_f64 v[156:157], v[156:157], s[20:21]
	v_add_f64 v[224:225], v[150:151], -v[45:46]
	v_add_f64 v[228:229], v[45:46], v[150:151]
	v_fma_f64 v[45:46], v[148:149], s[4:5], v[158:159]
	v_add_f64 v[148:149], v[18:19], -v[14:15]
	v_add_f64 v[150:151], v[16:17], v[12:13]
	v_add_f64 v[12:13], v[12:13], -v[8:9]
	v_mul_f64 v[158:159], v[22:23], s[4:5]
	v_add_f64 v[43:44], v[45:46], v[37:38]
	v_add_f64 v[45:46], v[47:48], v[39:40]
	v_add_f64 v[47:48], v[240:241], -v[246:247]
	v_mul_f64 v[148:149], v[148:149], s[20:21]
	v_add_f64 v[150:151], v[150:151], v[8:9]
	v_fma_f64 v[158:159], v[20:21], s[18:19], -v[158:159]
	v_add_f64 v[8:9], v[8:9], -v[16:17]
	v_add_f64 v[37:38], v[41:42], v[43:44]
	v_add_f64 v[39:40], v[45:46], -v[49:50]
	v_add_f64 v[41:42], v[43:44], -v[41:42]
	v_add_f64 v[43:44], v[49:50], v[45:46]
	v_add_f64 v[49:50], v[18:19], v[14:15]
	v_add_f64 v[14:15], v[14:15], -v[10:11]
	v_add_f64 v[45:46], v[246:247], -v[238:239]
	v_mul_f64 v[162:163], v[47:48], s[4:5]
	v_add_f64 v[158:159], v[158:159], v[164:165]
	ds_write_b128 v32, v[37:40] offset:768
	ds_write_b128 v32, v[222:225] offset:1536
	;; [unrolled: 1-line block ×6, first 2 shown]
	v_mul_u32_u24_sdwa v0, v36, v51 dst_sel:DWORD dst_unused:UNUSED_PAD src0_sel:WORD_0 src1_sel:DWORD
	v_add_f64 v[49:50], v[49:50], v[10:11]
	v_fma_f64 v[176:177], v[14:15], s[16:17], -v[148:149]
	v_add_f64 v[10:11], v[10:11], -v[18:19]
	v_fma_f64 v[162:163], v[45:46], s[18:19], -v[162:163]
	v_mul_f64 v[14:15], v[14:15], s[16:17]
	v_fma_f64 v[178:179], v[49:50], s[12:13], v[176:177]
	v_fma_f64 v[176:177], v[12:13], s[16:17], -v[156:157]
	v_add_f64 v[162:163], v[162:163], v[166:167]
	v_mul_f64 v[12:13], v[12:13], s[16:17]
	v_fma_f64 v[14:15], v[10:11], s[28:29], -v[14:15]
	v_fma_f64 v[10:11], v[10:11], s[22:23], v[148:149]
	v_fma_f64 v[176:177], v[150:151], s[12:13], v[176:177]
	v_add_f64 v[182:183], v[178:179], v[162:163]
	v_add_f64 v[178:179], v[162:163], -v[178:179]
	v_add_f64 v[162:163], v[238:239], -v[240:241]
	v_fma_f64 v[12:13], v[8:9], s[28:29], -v[12:13]
	v_fma_f64 v[14:15], v[49:50], s[12:13], v[14:15]
	v_fma_f64 v[8:9], v[8:9], s[22:23], v[156:157]
	;; [unrolled: 1-line block ×3, first 2 shown]
	v_add_f64 v[180:181], v[158:159], -v[176:177]
	v_add_f64 v[176:177], v[176:177], v[158:159]
	v_add_f64 v[158:159], v[232:233], -v[234:235]
	v_mul_f64 v[18:19], v[162:163], s[24:25]
	v_fma_f64 v[12:13], v[150:151], s[12:13], v[12:13]
	v_fma_f64 v[8:9], v[150:151], s[12:13], v[8:9]
	v_mul_f64 v[16:17], v[158:159], s[24:25]
	v_fma_f64 v[45:46], v[45:46], s[26:27], -v[18:19]
	v_fma_f64 v[20:21], v[20:21], s[26:27], -v[16:17]
	v_add_f64 v[45:46], v[45:46], v[166:167]
	v_add_f64 v[20:21], v[20:21], v[164:165]
	v_add_f64 v[194:195], v[45:46], -v[14:15]
	v_add_f64 v[186:187], v[14:15], v[45:46]
	v_fma_f64 v[14:15], v[47:48], s[4:5], v[18:19]
	v_add_f64 v[18:19], v[200:201], -v[160:161]
	v_add_f64 v[45:46], v[26:27], -v[252:253]
	;; [unrolled: 1-line block ×3, first 2 shown]
	v_fma_f64 v[200:201], v[154:155], s[14:15], v[172:173]
	v_add_f64 v[192:193], v[12:13], v[20:21]
	v_add_f64 v[184:185], v[20:21], -v[12:13]
	v_fma_f64 v[12:13], v[22:23], s[4:5], v[16:17]
	v_add_f64 v[14:15], v[14:15], v[166:167]
	v_add_f64 v[16:17], v[212:213], -v[208:209]
	v_add_f64 v[22:23], v[250:251], -v[152:153]
	;; [unrolled: 1-line block ×3, first 2 shown]
	v_add_f64 v[12:13], v[12:13], v[164:165]
	v_add_f64 v[198:199], v[14:15], -v[10:11]
	v_add_f64 v[190:191], v[10:11], v[14:15]
	v_add_f64 v[10:11], v[214:215], -v[210:211]
	v_add_f64 v[14:15], v[204:205], -v[216:217]
	v_add_f64 v[196:197], v[8:9], v[12:13]
	v_add_f64 v[188:189], v[12:13], -v[8:9]
	v_add_f64 v[8:9], v[206:207], -v[218:219]
	v_add_f64 v[12:13], v[202:203], -v[220:221]
	v_add_f64 v[148:149], v[16:17], v[14:15]
	v_add_f64 v[150:151], v[16:17], -v[14:15]
	;; [unrolled: 4-line block ×3, first 2 shown]
	v_add_f64 v[164:165], v[148:149], v[18:19]
	v_mul_f64 v[166:167], v[150:151], s[20:21]
	v_mul_f64 v[148:149], v[22:23], s[4:5]
	;; [unrolled: 1-line block ×3, first 2 shown]
	v_add_f64 v[10:11], v[12:13], -v[10:11]
	v_mul_f64 v[49:50], v[49:50], s[20:21]
	v_add_f64 v[47:48], v[47:48], v[12:13]
	v_add_f64 v[12:13], v[18:19], -v[16:17]
	v_fma_f64 v[148:149], v[20:21], s[18:19], -v[148:149]
	v_fma_f64 v[150:151], v[45:46], s[18:19], -v[150:151]
	;; [unrolled: 1-line block ×3, first 2 shown]
	v_mul_f64 v[8:9], v[8:9], s[16:17]
	v_add_f64 v[156:157], v[148:149], v[200:201]
	v_add_f64 v[158:159], v[150:151], v[24:25]
	v_fma_f64 v[154:155], v[47:48], s[12:13], v[152:153]
	v_fma_f64 v[152:153], v[14:15], s[16:17], -v[166:167]
	v_mul_f64 v[14:15], v[14:15], s[16:17]
	v_fma_f64 v[8:9], v[10:11], s[28:29], -v[8:9]
	v_add_f64 v[150:151], v[154:155], v[158:159]
	v_fma_f64 v[152:153], v[164:165], s[12:13], v[152:153]
	v_add_f64 v[154:155], v[158:159], -v[154:155]
	v_add_f64 v[158:159], v[252:253], -v[254:255]
	v_fma_f64 v[14:15], v[12:13], s[28:29], -v[14:15]
	v_fma_f64 v[8:9], v[47:48], s[12:13], v[8:9]
	v_add_f64 v[148:149], v[156:157], -v[152:153]
	v_add_f64 v[152:153], v[152:153], v[156:157]
	v_add_f64 v[156:157], v[248:249], -v[250:251]
	v_mul_f64 v[18:19], v[158:159], s[24:25]
	v_fma_f64 v[14:15], v[164:165], s[12:13], v[14:15]
	v_mul_f64 v[16:17], v[156:157], s[24:25]
	v_fma_f64 v[45:46], v[45:46], s[26:27], -v[18:19]
	v_fma_f64 v[20:21], v[20:21], s[26:27], -v[16:17]
	v_add_f64 v[45:46], v[45:46], v[24:25]
	v_add_f64 v[20:21], v[20:21], v[200:201]
	v_add_f64 v[158:159], v[45:46], -v[8:9]
	v_add_f64 v[162:163], v[8:9], v[45:46]
	v_fma_f64 v[8:9], v[10:11], s[22:23], v[49:50]
	v_fma_f64 v[10:11], v[12:13], s[22:23], v[166:167]
	;; [unrolled: 1-line block ×3, first 2 shown]
	v_add_f64 v[156:157], v[14:15], v[20:21]
	v_add_f64 v[160:161], v[20:21], -v[14:15]
	v_fma_f64 v[14:15], v[26:27], s[4:5], v[18:19]
	v_fma_f64 v[8:9], v[47:48], s[12:13], v[8:9]
	v_fma_f64 v[10:11], v[164:165], s[12:13], v[10:11]
	v_add_f64 v[12:13], v[12:13], v[200:201]
	v_add_f64 v[14:15], v[14:15], v[24:25]
	v_add_lshl_u32 v24, v0, v35, 4
	ds_write_b128 v24, v[168:171]
	ds_write_b128 v24, v[196:199] offset:768
	ds_write_b128 v24, v[192:195] offset:1536
	;; [unrolled: 1-line block ×6, first 2 shown]
	v_add_f64 v[216:217], v[10:11], v[12:13]
	v_add_f64 v[164:165], v[12:13], -v[10:11]
	v_add_f64 v[218:219], v[14:15], -v[8:9]
	v_add_f64 v[166:167], v[8:9], v[14:15]
	s_and_saveexec_b32 s1, s0
	s_cbranch_execz .LBB0_23
; %bb.22:
	buffer_load_dword v1, off, s[36:39], 0 offset:244 ; 4-byte Folded Reload
	v_mov_b32_e32 v0, 4
	s_waitcnt vmcnt(0)
	v_lshlrev_b32_sdwa v0, v0, v1 dst_sel:DWORD dst_unused:UNUSED_PAD src0_sel:DWORD src1_sel:WORD_0
	ds_write_b128 v0, v[172:175] offset:21504
	ds_write_b128 v0, v[216:219] offset:22272
	;; [unrolled: 1-line block ×7, first 2 shown]
.LBB0_23:
	s_or_b32 exec_lo, exec_lo, s1
	v_lshlrev_b32_e32 v0, 6, v31
	s_waitcnt lgkmcnt(0)
	s_barrier
	buffer_gl0_inv
	v_lshlrev_b32_e32 v4, 6, v34
	v_add_co_u32 v2, s1, s2, v0
	v_add_co_ci_u32_e64 v3, null, s3, 0, s1
	s_mov_b32 s4, 0x134454ff
	v_add_co_u32 v0, s1, 0x1000, v2
	v_add_co_ci_u32_e64 v1, s1, 0, v3, s1
	v_add_co_u32 v2, s1, 0x14e0, v2
	v_add_co_ci_u32_e64 v3, s1, 0, v3, s1
	global_load_dwordx4 v[168:171], v[0:1], off offset:1248
	v_add_co_u32 v0, s1, s2, v4
	v_add_co_ci_u32_e64 v1, null, s3, 0, s1
	s_clause 0x1
	global_load_dwordx4 v[180:183], v[2:3], off offset:16
	global_load_dwordx4 v[176:179], v[2:3], off offset:32
	v_add_co_u32 v4, s1, 0x1000, v0
	v_add_co_ci_u32_e64 v5, s1, 0, v1, s1
	v_add_co_u32 v0, s1, 0x14e0, v0
	v_add_co_ci_u32_e64 v1, s1, 0, v1, s1
	s_clause 0x3
	global_load_dwordx4 v[172:175], v[2:3], off offset:48
	global_load_dwordx4 v[184:187], v[4:5], off offset:1248
	;; [unrolled: 1-line block ×4, first 2 shown]
	v_lshlrev_b32_e32 v2, 6, v33
	global_load_dwordx4 v[196:199], v[0:1], off offset:48
	s_mov_b32 s5, 0x3fee6f0e
	s_mov_b32 s17, 0xbfee6f0e
	;; [unrolled: 1-line block ×3, first 2 shown]
	v_add_co_u32 v2, s1, s2, v2
	v_add_co_ci_u32_e64 v3, null, s3, 0, s1
	s_mov_b32 s2, 0x4755a5e
	v_add_co_u32 v0, s1, 0x1000, v2
	v_add_co_ci_u32_e64 v1, s1, 0, v3, s1
	v_add_co_u32 v2, s1, 0x14e0, v2
	v_add_co_ci_u32_e64 v3, s1, 0, v3, s1
	s_clause 0x3
	global_load_dwordx4 v[208:211], v[0:1], off offset:1248
	global_load_dwordx4 v[204:207], v[2:3], off offset:16
	;; [unrolled: 1-line block ×4, first 2 shown]
	ds_read_b128 v[0:3], v30 offset:5376
	ds_read_b128 v[4:7], v30 offset:10752
	;; [unrolled: 1-line block ×12, first 2 shown]
	s_mov_b32 s3, 0x3fe2cf23
	s_mov_b32 s13, 0xbfe2cf23
	;; [unrolled: 1-line block ×5, first 2 shown]
	s_waitcnt vmcnt(11) lgkmcnt(11)
	v_mul_f64 v[25:26], v[2:3], v[170:171]
	v_mul_f64 v[45:46], v[0:1], v[170:171]
	s_waitcnt vmcnt(10) lgkmcnt(10)
	v_mul_f64 v[47:48], v[6:7], v[182:183]
	v_mul_f64 v[49:50], v[4:5], v[182:183]
	;; [unrolled: 3-line block ×3, first 2 shown]
	s_waitcnt vmcnt(8) lgkmcnt(8)
	v_mul_f64 v[236:237], v[12:13], v[174:175]
	s_waitcnt vmcnt(7) lgkmcnt(7)
	v_mul_f64 v[240:241], v[18:19], v[186:187]
	v_mul_f64 v[242:243], v[16:17], v[186:187]
	s_waitcnt vmcnt(6) lgkmcnt(6)
	v_mul_f64 v[244:245], v[22:23], v[202:203]
	v_mul_f64 v[246:247], v[20:21], v[202:203]
	;; [unrolled: 1-line block ×3, first 2 shown]
	s_waitcnt vmcnt(5) lgkmcnt(4)
	v_mul_f64 v[248:249], v[39:40], v[194:195]
	v_mul_f64 v[250:251], v[37:38], v[194:195]
	v_fma_f64 v[25:26], v[0:1], v[168:169], -v[25:26]
	v_fma_f64 v[45:46], v[2:3], v[168:169], v[45:46]
	ds_read_b128 v[0:3], v30
	s_waitcnt vmcnt(4) lgkmcnt(4)
	v_mul_f64 v[252:253], v[43:44], v[198:199]
	v_fma_f64 v[47:48], v[4:5], v[180:181], -v[47:48]
	v_fma_f64 v[49:50], v[6:7], v[180:181], v[49:50]
	v_fma_f64 v[232:233], v[8:9], v[176:177], -v[232:233]
	v_fma_f64 v[234:235], v[10:11], v[176:177], v[234:235]
	ds_read_b128 v[8:11], v30 offset:1792
	ds_read_b128 v[4:7], v30 offset:25088
	v_mul_f64 v[254:255], v[41:42], v[198:199]
	v_fma_f64 v[14:15], v[14:15], v[172:173], v[236:237]
	v_fma_f64 v[240:241], v[16:17], v[184:185], -v[240:241]
	v_fma_f64 v[242:243], v[18:19], v[184:185], v[242:243]
	s_waitcnt vmcnt(2) lgkmcnt(5)
	v_mul_f64 v[16:17], v[222:223], v[206:207]
	v_mul_f64 v[18:19], v[220:221], v[206:207]
	v_fma_f64 v[244:245], v[20:21], v[200:201], -v[244:245]
	v_fma_f64 v[246:247], v[22:23], v[200:201], v[246:247]
	v_fma_f64 v[12:13], v[12:13], v[172:173], -v[238:239]
	s_waitcnt lgkmcnt(2)
	v_add_f64 v[20:21], v[0:1], v[25:26]
	v_add_f64 v[22:23], v[2:3], v[45:46]
	v_mul_f64 v[236:237], v[226:227], v[210:211]
	v_mul_f64 v[238:239], v[224:225], v[210:211]
	v_fma_f64 v[248:249], v[37:38], v[192:193], -v[248:249]
	v_fma_f64 v[250:251], v[39:40], v[192:193], v[250:251]
	s_waitcnt vmcnt(1)
	v_mul_f64 v[37:38], v[230:231], v[214:215]
	v_mul_f64 v[39:40], v[228:229], v[214:215]
	v_fma_f64 v[252:253], v[41:42], v[196:197], -v[252:253]
	v_add_f64 v[41:42], v[47:48], -v[232:233]
	v_fma_f64 v[254:255], v[43:44], v[196:197], v[254:255]
	v_fma_f64 v[220:221], v[220:221], v[204:205], -v[16:17]
	v_fma_f64 v[222:223], v[222:223], v[204:205], v[18:19]
	s_waitcnt vmcnt(0) lgkmcnt(0)
	v_mul_f64 v[16:17], v[6:7], v[190:191]
	v_mul_f64 v[18:19], v[4:5], v[190:191]
	v_add_f64 v[43:44], v[12:13], -v[232:233]
	v_add_f64 v[20:21], v[20:21], v[47:48]
	v_add_f64 v[22:23], v[22:23], v[49:50]
	v_fma_f64 v[224:225], v[224:225], v[208:209], -v[236:237]
	v_fma_f64 v[226:227], v[226:227], v[208:209], v[238:239]
	v_add_f64 v[53:54], v[246:247], -v[242:243]
	v_fma_f64 v[228:229], v[228:229], v[212:213], -v[37:38]
	v_fma_f64 v[230:231], v[230:231], v[212:213], v[39:40]
	v_add_f64 v[37:38], v[25:26], -v[47:48]
	v_add_f64 v[39:40], v[25:26], -v[12:13]
	v_fma_f64 v[236:237], v[4:5], v[188:189], -v[16:17]
	v_fma_f64 v[238:239], v[6:7], v[188:189], v[18:19]
	v_add_f64 v[4:5], v[47:48], v[232:233]
	v_add_f64 v[6:7], v[49:50], v[234:235]
	v_add_f64 v[16:17], v[25:26], v[12:13]
	v_add_f64 v[18:19], v[45:46], v[14:15]
	v_add_f64 v[20:21], v[20:21], v[232:233]
	v_add_f64 v[22:23], v[22:23], v[234:235]
	v_add_f64 v[25:26], v[47:48], -v[25:26]
	v_add_f64 v[47:48], v[232:233], -v[12:13]
	v_add_f64 v[37:38], v[37:38], v[43:44]
	v_add_f64 v[74:75], v[236:237], -v[228:229]
	v_add_f64 v[68:69], v[230:231], -v[238:239]
	v_fma_f64 v[4:5], v[4:5], -0.5, v[0:1]
	v_fma_f64 v[6:7], v[6:7], -0.5, v[2:3]
	;; [unrolled: 1-line block ×4, first 2 shown]
	v_add_f64 v[0:1], v[20:21], v[12:13]
	v_add_f64 v[2:3], v[22:23], v[14:15]
	v_add_f64 v[12:13], v[45:46], -v[49:50]
	v_add_f64 v[20:21], v[45:46], -v[14:15]
	;; [unrolled: 1-line block ×6, first 2 shown]
	v_add_f64 v[25:26], v[25:26], v[47:48]
	v_add_f64 v[70:71], v[238:239], -v[230:231]
	v_add_f64 v[72:73], v[228:229], -v[236:237]
	v_fma_f64 v[232:233], v[41:42], s[4:5], v[18:19]
	v_fma_f64 v[18:19], v[41:42], s[16:17], v[18:19]
	v_add_f64 v[43:44], v[12:13], v[49:50]
	v_fma_f64 v[12:13], v[20:21], s[4:5], v[4:5]
	v_fma_f64 v[4:5], v[20:21], s[16:17], v[4:5]
	;; [unrolled: 1-line block ×4, first 2 shown]
	v_add_f64 v[22:23], v[22:23], v[14:15]
	v_fma_f64 v[12:13], v[45:46], s[2:3], v[12:13]
	v_fma_f64 v[45:46], v[45:46], s[12:13], v[4:5]
	v_fma_f64 v[4:5], v[39:40], s[16:17], v[6:7]
	v_fma_f64 v[6:7], v[39:40], s[4:5], v[6:7]
	v_fma_f64 v[47:48], v[20:21], s[2:3], v[49:50]
	v_fma_f64 v[20:21], v[20:21], s[12:13], v[16:17]
	v_fma_f64 v[49:50], v[39:40], s[12:13], v[232:233]
	v_fma_f64 v[39:40], v[39:40], s[2:3], v[18:19]
	v_add_f64 v[232:233], v[240:241], -v[244:245]
	v_fma_f64 v[234:235], v[41:42], s[12:13], v[4:5]
	v_fma_f64 v[41:42], v[41:42], s[2:3], v[6:7]
	;; [unrolled: 1-line block ×4, first 2 shown]
	v_add_f64 v[37:38], v[244:245], v[248:249]
	v_fma_f64 v[16:17], v[25:26], s[14:15], v[47:48]
	v_fma_f64 v[18:19], v[22:23], s[14:15], v[49:50]
	v_fma_f64 v[20:21], v[25:26], s[14:15], v[20:21]
	v_fma_f64 v[22:23], v[22:23], s[14:15], v[39:40]
	v_add_f64 v[25:26], v[254:255], -v[250:251]
	v_add_f64 v[39:40], v[246:247], v[250:251]
	v_add_f64 v[45:46], v[242:243], -v[254:255]
	v_add_f64 v[49:50], v[246:247], -v[250:251]
	v_fma_f64 v[6:7], v[43:44], s[14:15], v[234:235]
	v_add_f64 v[234:235], v[252:253], -v[248:249]
	v_fma_f64 v[14:15], v[43:44], s[14:15], v[41:42]
	v_add_f64 v[41:42], v[242:243], -v[246:247]
	v_fma_f64 v[47:48], v[37:38], -0.5, v[8:9]
	v_add_f64 v[43:44], v[232:233], v[234:235]
	v_add_f64 v[232:233], v[240:241], -v[252:253]
	v_add_f64 v[25:26], v[41:42], v[25:26]
	v_fma_f64 v[41:42], v[39:40], -0.5, v[10:11]
	v_fma_f64 v[37:38], v[45:46], s[4:5], v[47:48]
	v_fma_f64 v[47:48], v[45:46], s[16:17], v[47:48]
	v_add_f64 v[234:235], v[244:245], -v[248:249]
	v_fma_f64 v[39:40], v[232:233], s[16:17], v[41:42]
	v_fma_f64 v[41:42], v[232:233], s[4:5], v[41:42]
	v_fma_f64 v[47:48], v[49:50], s[12:13], v[47:48]
	v_fma_f64 v[37:38], v[49:50], s[2:3], v[37:38]
	v_fma_f64 v[39:40], v[234:235], s[12:13], v[39:40]
	v_fma_f64 v[51:52], v[234:235], s[2:3], v[41:42]
	v_fma_f64 v[41:42], v[43:44], s[14:15], v[47:48]
	v_add_f64 v[47:48], v[242:243], v[254:255]
	v_fma_f64 v[37:38], v[43:44], s[14:15], v[37:38]
	v_fma_f64 v[39:40], v[25:26], s[14:15], v[39:40]
	;; [unrolled: 1-line block ×3, first 2 shown]
	v_add_f64 v[25:26], v[240:241], v[252:253]
	v_fma_f64 v[47:48], v[47:48], -0.5, v[10:11]
	v_add_f64 v[10:11], v[10:11], v[242:243]
	v_add_f64 v[242:243], v[226:227], v[238:239]
	v_add_f64 v[51:52], v[244:245], -v[240:241]
	v_fma_f64 v[25:26], v[25:26], -0.5, v[8:9]
	v_add_f64 v[8:9], v[8:9], v[240:241]
	v_add_f64 v[10:11], v[10:11], v[246:247]
	;; [unrolled: 1-line block ×3, first 2 shown]
	v_fma_f64 v[242:243], v[242:243], -0.5, v[35:36]
	v_add_f64 v[240:241], v[224:225], v[236:237]
	v_add_f64 v[8:9], v[8:9], v[244:245]
	;; [unrolled: 1-line block ×3, first 2 shown]
	v_fma_f64 v[246:247], v[246:247], -0.5, v[35:36]
	v_add_f64 v[35:36], v[35:36], v[226:227]
	v_fma_f64 v[240:241], v[240:241], -0.5, v[33:34]
	v_add_f64 v[10:11], v[10:11], v[250:251]
	v_add_f64 v[250:251], v[250:251], -v[254:255]
	v_add_f64 v[8:9], v[8:9], v[248:249]
	v_fma_f64 v[244:245], v[244:245], -0.5, v[33:34]
	v_add_f64 v[33:34], v[33:34], v[224:225]
	v_add_f64 v[35:36], v[35:36], v[222:223]
	v_add_f64 v[248:249], v[248:249], -v[252:253]
	v_add_f64 v[10:11], v[10:11], v[254:255]
	v_add_f64 v[254:255], v[222:223], -v[230:231]
	v_add_f64 v[53:54], v[53:54], v[250:251]
	v_add_f64 v[8:9], v[8:9], v[252:253]
	v_fma_f64 v[252:253], v[49:50], s[16:17], v[25:26]
	v_fma_f64 v[25:26], v[49:50], s[4:5], v[25:26]
	v_add_f64 v[35:36], v[35:36], v[230:231]
	v_fma_f64 v[49:50], v[234:235], s[4:5], v[47:48]
	v_fma_f64 v[47:48], v[234:235], s[16:17], v[47:48]
	v_add_f64 v[33:34], v[33:34], v[220:221]
	v_add_f64 v[234:235], v[222:223], -v[226:227]
	v_add_f64 v[222:223], v[226:227], -v[222:223]
	;; [unrolled: 1-line block ×4, first 2 shown]
	v_add_f64 v[51:52], v[51:52], v[248:249]
	v_fma_f64 v[25:26], v[45:46], s[12:13], v[25:26]
	v_add_f64 v[35:36], v[35:36], v[238:239]
	v_add_f64 v[238:239], v[220:221], -v[228:229]
	v_add_f64 v[220:221], v[224:225], -v[220:221]
	;; [unrolled: 1-line block ×3, first 2 shown]
	v_add_f64 v[33:34], v[33:34], v[228:229]
	v_add_f64 v[70:71], v[222:223], v[70:71]
	v_fma_f64 v[222:223], v[254:255], s[4:5], v[240:241]
	v_add_f64 v[72:73], v[230:231], v[72:73]
	v_add_f64 v[68:69], v[234:235], v[68:69]
	v_fma_f64 v[228:229], v[226:227], s[4:5], v[244:245]
	v_fma_f64 v[230:231], v[226:227], s[16:17], v[244:245]
	;; [unrolled: 1-line block ×3, first 2 shown]
	v_add_f64 v[74:75], v[220:221], v[74:75]
	v_fma_f64 v[220:221], v[45:46], s[2:3], v[252:253]
	v_fma_f64 v[45:46], v[232:233], s[12:13], v[49:50]
	;; [unrolled: 1-line block ×6, first 2 shown]
	v_add_f64 v[33:34], v[33:34], v[236:237]
	v_fma_f64 v[236:237], v[224:225], s[4:5], v[246:247]
	v_fma_f64 v[246:247], v[254:255], s[12:13], v[230:231]
	;; [unrolled: 1-line block ×11, first 2 shown]
	v_add_co_u32 v25, s1, 0x6800, v28
	v_add_co_ci_u32_e64 v26, s1, 0, v29, s1
	v_fma_f64 v[232:233], v[72:73], s[14:15], v[49:50]
	v_fma_f64 v[240:241], v[224:225], s[12:13], v[226:227]
	;; [unrolled: 1-line block ×10, first 2 shown]
	ds_write_b128 v30, v[0:3]
	ds_write_b128 v30, v[8:11] offset:1792
	ds_write_b128 v30, v[33:36] offset:3584
	;; [unrolled: 1-line block ×14, first 2 shown]
	s_waitcnt lgkmcnt(0)
	s_barrier
	buffer_gl0_inv
	global_load_dwordx4 v[2:5], v[25:26], off offset:256
	v_add_co_u32 v6, s1, 0x9800, v28
	v_add_co_ci_u32_e64 v7, s1, 0, v29, s1
	v_add_co_u32 v0, s1, 0x6900, v28
	v_add_co_ci_u32_e64 v1, s1, 0, v29, s1
	s_clause 0x1
	global_load_dwordx4 v[6:9], v[6:7], off offset:1408
	global_load_dwordx4 v[10:13], v[0:1], off offset:1792
	v_add_co_u32 v14, s1, 0xa000, v28
	v_add_co_ci_u32_e64 v15, s1, 0, v29, s1
	v_add_co_u32 v18, s1, 0x7000, v28
	v_add_co_ci_u32_e64 v19, s1, 0, v29, s1
	global_load_dwordx4 v[14:17], v[14:15], off offset:1152
	v_add_co_u32 v22, s1, 0xa800, v28
	global_load_dwordx4 v[18:21], v[18:19], off offset:1792
	v_add_co_ci_u32_e64 v23, s1, 0, v29, s1
	global_load_dwordx4 v[33:36], v[22:23], off offset:896
	v_add_co_u32 v22, s1, 0x7800, v28
	v_add_co_ci_u32_e64 v23, s1, 0, v29, s1
	global_load_dwordx4 v[37:40], v[22:23], off offset:1536
	v_add_co_u32 v22, s1, 0xb000, v28
	;; [unrolled: 3-line block ×4, first 2 shown]
	v_add_co_ci_u32_e64 v23, s1, 0, v29, s1
	global_load_dwordx4 v[228:231], v[22:23], off offset:384
	ds_read_b128 v[232:235], v30
	ds_read_b128 v[236:239], v30 offset:1792
	ds_read_b128 v[240:243], v30 offset:13440
	;; [unrolled: 1-line block ×3, first 2 shown]
	s_waitcnt vmcnt(9) lgkmcnt(3)
	v_mul_f64 v[22:23], v[234:235], v[4:5]
	v_mul_f64 v[4:5], v[232:233], v[4:5]
	s_waitcnt vmcnt(8) lgkmcnt(1)
	v_mul_f64 v[25:26], v[242:243], v[8:9]
	v_mul_f64 v[8:9], v[240:241], v[8:9]
	v_fma_f64 v[232:233], v[232:233], v[2:3], -v[22:23]
	v_fma_f64 v[234:235], v[234:235], v[2:3], v[4:5]
	ds_read_b128 v[2:5], v30 offset:15232
	s_waitcnt vmcnt(7)
	v_mul_f64 v[22:23], v[238:239], v[12:13]
	v_mul_f64 v[12:13], v[236:237], v[12:13]
	v_fma_f64 v[240:241], v[240:241], v[6:7], -v[25:26]
	v_fma_f64 v[242:243], v[242:243], v[6:7], v[8:9]
	ds_read_b128 v[6:9], v30 offset:17024
	s_waitcnt vmcnt(6) lgkmcnt(1)
	v_mul_f64 v[25:26], v[4:5], v[16:17]
	v_mul_f64 v[16:17], v[2:3], v[16:17]
	v_fma_f64 v[236:237], v[236:237], v[10:11], -v[22:23]
	v_fma_f64 v[238:239], v[238:239], v[10:11], v[12:13]
	ds_read_b128 v[10:13], v30 offset:3584
	ds_read_b128 v[248:251], v30 offset:5376
	s_waitcnt vmcnt(4) lgkmcnt(2)
	v_mul_f64 v[22:23], v[6:7], v[35:36]
	v_fma_f64 v[2:3], v[2:3], v[14:15], -v[25:26]
	v_fma_f64 v[4:5], v[4:5], v[14:15], v[16:17]
	s_waitcnt lgkmcnt(1)
	v_mul_f64 v[14:15], v[12:13], v[20:21]
	v_mul_f64 v[16:17], v[10:11], v[20:21]
	;; [unrolled: 1-line block ×3, first 2 shown]
	s_waitcnt vmcnt(3) lgkmcnt(0)
	v_mul_f64 v[25:26], v[250:251], v[39:40]
	v_mul_f64 v[35:36], v[248:249], v[39:40]
	v_fma_f64 v[8:9], v[8:9], v[33:34], v[22:23]
	v_fma_f64 v[10:11], v[10:11], v[18:19], -v[14:15]
	v_fma_f64 v[12:13], v[12:13], v[18:19], v[16:17]
	ds_read_b128 v[14:17], v30 offset:18816
	v_fma_f64 v[6:7], v[6:7], v[33:34], -v[20:21]
	ds_read_b128 v[18:21], v30 offset:20608
	v_fma_f64 v[33:34], v[248:249], v[37:38], -v[25:26]
	v_fma_f64 v[35:36], v[250:251], v[37:38], v[35:36]
	ds_read_b128 v[37:40], v30 offset:7168
	v_add_co_u32 v25, s1, 0x8800, v28
	v_add_co_ci_u32_e64 v26, s1, 0, v29, s1
	global_load_dwordx4 v[248:251], v[25:26], off offset:1024
	s_waitcnt vmcnt(3) lgkmcnt(2)
	v_mul_f64 v[22:23], v[16:17], v[43:44]
	v_mul_f64 v[43:44], v[14:15], v[43:44]
	v_fma_f64 v[14:15], v[14:15], v[41:42], -v[22:23]
	v_fma_f64 v[16:17], v[16:17], v[41:42], v[43:44]
	ds_read_b128 v[41:44], v30 offset:8960
	s_waitcnt vmcnt(2) lgkmcnt(1)
	v_mul_f64 v[45:46], v[37:38], v[226:227]
	v_mul_f64 v[22:23], v[39:40], v[226:227]
	v_fma_f64 v[39:40], v[39:40], v[224:225], v[45:46]
	v_add_co_u32 v45, s1, 0xc000, v28
	v_add_co_ci_u32_e64 v46, s1, 0, v29, s1
	v_fma_f64 v[37:38], v[37:38], v[224:225], -v[22:23]
	s_waitcnt vmcnt(1)
	v_mul_f64 v[22:23], v[20:21], v[230:231]
	global_load_dwordx4 v[224:227], v[45:46], off offset:128
	v_mul_f64 v[25:26], v[18:19], v[230:231]
	v_fma_f64 v[18:19], v[18:19], v[228:229], -v[22:23]
	v_fma_f64 v[20:21], v[20:21], v[228:229], v[25:26]
	s_waitcnt vmcnt(1) lgkmcnt(0)
	v_mul_f64 v[22:23], v[43:44], v[250:251]
	v_mul_f64 v[25:26], v[41:42], v[250:251]
	v_fma_f64 v[41:42], v[41:42], v[248:249], -v[22:23]
	v_fma_f64 v[43:44], v[43:44], v[248:249], v[25:26]
	ds_read_b128 v[228:231], v30 offset:22400
	ds_read_b128 v[248:251], v30 offset:24192
	s_waitcnt vmcnt(0) lgkmcnt(1)
	v_mul_f64 v[22:23], v[230:231], v[226:227]
	v_mul_f64 v[25:26], v[228:229], v[226:227]
	v_fma_f64 v[226:227], v[228:229], v[224:225], -v[22:23]
	v_add_co_u32 v22, s1, 0x9000, v28
	v_add_co_ci_u32_e64 v23, s1, 0, v29, s1
	s_clause 0x1
	global_load_dwordx4 v[252:255], v[22:23], off offset:768
	global_load_dwordx4 v[45:48], v[45:46], off offset:1920
	v_fma_f64 v[228:229], v[230:231], v[224:225], v[25:26]
	s_waitcnt vmcnt(1)
	v_mul_f64 v[22:23], v[246:247], v[254:255]
	v_mul_f64 v[25:26], v[244:245], v[254:255]
	v_fma_f64 v[244:245], v[244:245], v[252:253], -v[22:23]
	v_fma_f64 v[246:247], v[246:247], v[252:253], v[25:26]
	s_waitcnt vmcnt(0) lgkmcnt(0)
	v_mul_f64 v[22:23], v[250:251], v[47:48]
	v_mul_f64 v[25:26], v[248:249], v[47:48]
	v_fma_f64 v[47:48], v[248:249], v[45:46], -v[22:23]
	v_fma_f64 v[49:50], v[250:251], v[45:46], v[25:26]
	ds_write_b128 v30, v[232:235]
	ds_write_b128 v30, v[240:243] offset:13440
	ds_write_b128 v30, v[236:239] offset:1792
	;; [unrolled: 1-line block ×13, first 2 shown]
	s_and_saveexec_b32 s2, vcc_lo
	s_cbranch_execz .LBB0_25
; %bb.24:
	v_add_co_u32 v2, s1, 0x3000, v0
	v_add_co_ci_u32_e64 v3, s1, 0, v1, s1
	v_add_co_u32 v4, s1, 0x6000, v0
	v_add_co_ci_u32_e64 v5, s1, 0, v1, s1
	s_clause 0x1
	global_load_dwordx4 v[0:3], v[2:3], off offset:256
	global_load_dwordx4 v[4:7], v[4:5], off offset:1408
	ds_read_b128 v[8:11], v30 offset:12544
	ds_read_b128 v[12:15], v30 offset:25984
	s_waitcnt vmcnt(1) lgkmcnt(1)
	v_mul_f64 v[16:17], v[10:11], v[2:3]
	v_mul_f64 v[2:3], v[8:9], v[2:3]
	s_waitcnt vmcnt(0) lgkmcnt(0)
	v_mul_f64 v[18:19], v[14:15], v[6:7]
	v_mul_f64 v[20:21], v[12:13], v[6:7]
	v_fma_f64 v[6:7], v[8:9], v[0:1], -v[16:17]
	v_fma_f64 v[8:9], v[10:11], v[0:1], v[2:3]
	v_fma_f64 v[0:1], v[12:13], v[4:5], -v[18:19]
	v_fma_f64 v[2:3], v[14:15], v[4:5], v[20:21]
	ds_write_b128 v30, v[6:9] offset:12544
	ds_write_b128 v30, v[0:3] offset:25984
.LBB0_25:
	s_or_b32 exec_lo, exec_lo, s2
	s_waitcnt lgkmcnt(0)
	s_barrier
	buffer_gl0_inv
	ds_read_b128 v[0:3], v30
	ds_read_b128 v[228:231], v30 offset:1792
	ds_read_b128 v[16:19], v30 offset:15232
	;; [unrolled: 1-line block ×13, first 2 shown]
	s_and_saveexec_b32 s1, vcc_lo
	s_cbranch_execz .LBB0_27
; %bb.26:
	ds_read_b128 v[220:223], v30 offset:12544
	ds_read_b128 v[216:219], v30 offset:25984
.LBB0_27:
	s_or_b32 exec_lo, exec_lo, s1
	s_waitcnt lgkmcnt(3)
	v_add_f64 v[20:21], v[0:1], -v[20:21]
	v_add_f64 v[22:23], v[2:3], -v[22:23]
	v_lshlrev_b32_e32 v25, 5, v31
	s_waitcnt lgkmcnt(0)
	s_barrier
	buffer_gl0_inv
	v_add_f64 v[16:17], v[228:229], -v[16:17]
	v_add_f64 v[18:19], v[230:231], -v[18:19]
	v_add_f64 v[12:13], v[236:237], -v[12:13]
	v_add_f64 v[14:15], v[238:239], -v[14:15]
	v_add_f64 v[8:9], v[232:233], -v[8:9]
	v_add_f64 v[10:11], v[234:235], -v[10:11]
	v_add_f64 v[4:5], v[244:245], -v[4:5]
	v_add_f64 v[6:7], v[246:247], -v[6:7]
	v_add_f64 v[33:34], v[240:241], -v[252:253]
	v_add_f64 v[35:36], v[242:243], -v[254:255]
	v_add_f64 v[37:38], v[248:249], -v[224:225]
	v_add_f64 v[39:40], v[250:251], -v[226:227]
	v_add_f64 v[224:225], v[220:221], -v[216:217]
	v_add_f64 v[226:227], v[222:223], -v[218:219]
	v_fma_f64 v[0:1], v[0:1], 2.0, -v[20:21]
	v_fma_f64 v[2:3], v[2:3], 2.0, -v[22:23]
	ds_write_b128 v25, v[20:23] offset:16
	ds_write_b128 v25, v[0:3]
	buffer_load_dword v0, off, s[36:39], 0 offset:248 ; 4-byte Folded Reload
	v_fma_f64 v[41:42], v[228:229], 2.0, -v[16:17]
	v_fma_f64 v[43:44], v[230:231], 2.0, -v[18:19]
	;; [unrolled: 1-line block ×14, first 2 shown]
	s_waitcnt vmcnt(0)
	ds_write_b128 v0, v[41:44]
	ds_write_b128 v0, v[16:19] offset:16
	buffer_load_dword v0, off, s[36:39], 0 offset:252 ; 4-byte Folded Reload
	s_waitcnt vmcnt(0)
	ds_write_b128 v0, v[45:48]
	ds_write_b128 v0, v[12:15] offset:16
	buffer_load_dword v0, off, s[36:39], 0 offset:256 ; 4-byte Folded Reload
	;; [unrolled: 4-line block ×5, first 2 shown]
	s_waitcnt vmcnt(0)
	ds_write_b128 v0, v[240:243]
	ds_write_b128 v0, v[37:40] offset:16
	s_and_saveexec_b32 s1, vcc_lo
	s_cbranch_execz .LBB0_29
; %bb.28:
	buffer_load_dword v0, off, s[36:39], 0 offset:376 ; 4-byte Folded Reload
	s_waitcnt vmcnt(0)
	ds_write_b128 v0, v[216:219]
	ds_write_b128 v0, v[224:227] offset:16
.LBB0_29:
	s_or_b32 exec_lo, exec_lo, s1
	s_waitcnt lgkmcnt(0)
	s_barrier
	buffer_gl0_inv
	ds_read_b128 v[228:231], v30
	ds_read_b128 v[232:235], v30 offset:1792
	ds_read_b128 v[0:3], v30 offset:15232
	;; [unrolled: 1-line block ×13, first 2 shown]
	s_and_saveexec_b32 s1, vcc_lo
	s_cbranch_execz .LBB0_31
; %bb.30:
	ds_read_b128 v[216:219], v30 offset:12544
	ds_read_b128 v[224:227], v30 offset:25984
.LBB0_31:
	s_or_b32 exec_lo, exec_lo, s1
	s_waitcnt lgkmcnt(3)
	v_mul_f64 v[25:26], v[58:59], v[22:23]
	v_mul_f64 v[35:36], v[58:59], v[2:3]
	;; [unrolled: 1-line block ×5, first 2 shown]
	s_waitcnt lgkmcnt(0)
	s_barrier
	buffer_gl0_inv
	v_mul_f64 v[37:38], v[58:59], v[0:1]
	v_mul_f64 v[43:44], v[58:59], v[10:11]
	;; [unrolled: 1-line block ×11, first 2 shown]
	v_fma_f64 v[20:21], v[56:57], v[20:21], v[25:26]
	v_fma_f64 v[25:26], v[56:57], v[0:1], v[35:36]
	v_fma_f64 v[22:23], v[56:57], v[22:23], -v[33:34]
	v_fma_f64 v[35:36], v[56:57], v[4:5], v[39:40]
	v_fma_f64 v[33:34], v[56:57], v[2:3], -v[37:38]
	v_fma_f64 v[37:38], v[56:57], v[6:7], -v[41:42]
	v_fma_f64 v[39:40], v[56:57], v[8:9], v[43:44]
	v_fma_f64 v[41:42], v[56:57], v[10:11], -v[45:46]
	v_fma_f64 v[43:44], v[56:57], v[220:221], v[47:48]
	v_fma_f64 v[47:48], v[56:57], v[16:17], v[51:52]
	v_fma_f64 v[51:52], v[56:57], v[12:13], v[68:69]
	v_fma_f64 v[45:46], v[56:57], v[222:223], -v[49:50]
	v_fma_f64 v[49:50], v[56:57], v[18:19], -v[53:54]
	;; [unrolled: 1-line block ×3, first 2 shown]
	v_fma_f64 v[68:69], v[56:57], v[224:225], v[72:73]
	v_fma_f64 v[55:56], v[56:57], v[226:227], -v[58:59]
	v_add_f64 v[0:1], v[228:229], -v[20:21]
	v_add_f64 v[4:5], v[232:233], -v[25:26]
	buffer_load_dword v25, off, s[36:39], 0 offset:296 ; 4-byte Folded Reload
	v_add_f64 v[2:3], v[230:231], -v[22:23]
	v_add_f64 v[8:9], v[240:241], -v[35:36]
	v_add_f64 v[6:7], v[234:235], -v[33:34]
	v_add_f64 v[10:11], v[242:243], -v[37:38]
	v_add_f64 v[12:13], v[236:237], -v[39:40]
	v_add_f64 v[14:15], v[238:239], -v[41:42]
	v_add_f64 v[16:17], v[248:249], -v[43:44]
	v_add_f64 v[20:21], v[244:245], -v[47:48]
	v_add_f64 v[33:34], v[252:253], -v[51:52]
	v_add_f64 v[18:19], v[250:251], -v[45:46]
	v_add_f64 v[22:23], v[246:247], -v[49:50]
	v_add_f64 v[35:36], v[254:255], -v[53:54]
	v_add_f64 v[220:221], v[216:217], -v[68:69]
	v_add_f64 v[222:223], v[218:219], -v[55:56]
	v_fma_f64 v[37:38], v[228:229], 2.0, -v[0:1]
	v_fma_f64 v[41:42], v[232:233], 2.0, -v[4:5]
	;; [unrolled: 1-line block ×4, first 2 shown]
	s_waitcnt vmcnt(0)
	ds_write_b128 v25, v[0:3] offset:32
	ds_write_b128 v25, v[37:40]
	buffer_load_dword v0, off, s[36:39], 0 offset:292 ; 4-byte Folded Reload
	v_fma_f64 v[43:44], v[234:235], 2.0, -v[6:7]
	v_fma_f64 v[47:48], v[242:243], 2.0, -v[10:11]
	;; [unrolled: 1-line block ×12, first 2 shown]
	s_waitcnt vmcnt(0)
	ds_write_b128 v0, v[41:44]
	ds_write_b128 v0, v[4:7] offset:32
	buffer_load_dword v0, off, s[36:39], 0 offset:288 ; 4-byte Folded Reload
	s_waitcnt vmcnt(0)
	ds_write_b128 v0, v[45:48]
	ds_write_b128 v0, v[8:11] offset:32
	buffer_load_dword v0, off, s[36:39], 0 offset:284 ; 4-byte Folded Reload
	;; [unrolled: 4-line block ×5, first 2 shown]
	s_waitcnt vmcnt(0)
	ds_write_b128 v0, v[236:239]
	ds_write_b128 v0, v[33:36] offset:32
	s_and_saveexec_b32 s1, vcc_lo
	s_cbranch_execz .LBB0_33
; %bb.32:
	buffer_load_dword v0, off, s[36:39], 0  ; 4-byte Folded Reload
	v_and_b32_e32 v1, 1, v31
	s_waitcnt vmcnt(0)
	v_and_or_b32 v0, 0x6fc, v0, v1
	v_lshlrev_b32_e32 v0, 4, v0
	ds_write_b128 v0, v[56:59]
	ds_write_b128 v0, v[220:223] offset:32
.LBB0_33:
	s_or_b32 exec_lo, exec_lo, s1
	s_waitcnt lgkmcnt(0)
	s_barrier
	buffer_gl0_inv
	ds_read_b128 v[224:227], v30
	ds_read_b128 v[228:231], v30 offset:1792
	ds_read_b128 v[0:3], v30 offset:15232
	;; [unrolled: 1-line block ×13, first 2 shown]
	s_and_saveexec_b32 s1, vcc_lo
	s_cbranch_execz .LBB0_35
; %bb.34:
	ds_read_b128 v[56:59], v30 offset:12544
	ds_read_b128 v[220:223], v30 offset:25984
.LBB0_35:
	s_or_b32 exec_lo, exec_lo, s1
	s_waitcnt lgkmcnt(3)
	v_mul_f64 v[25:26], v[66:67], v[22:23]
	v_mul_f64 v[35:36], v[66:67], v[2:3]
	;; [unrolled: 1-line block ×5, first 2 shown]
	s_waitcnt lgkmcnt(0)
	s_barrier
	buffer_gl0_inv
	v_mul_f64 v[37:38], v[66:67], v[0:1]
	v_mul_f64 v[43:44], v[66:67], v[10:11]
	;; [unrolled: 1-line block ×11, first 2 shown]
	v_fma_f64 v[20:21], v[64:65], v[20:21], v[25:26]
	v_fma_f64 v[25:26], v[64:65], v[0:1], v[35:36]
	v_fma_f64 v[22:23], v[64:65], v[22:23], -v[33:34]
	v_fma_f64 v[35:36], v[64:65], v[4:5], v[39:40]
	v_fma_f64 v[33:34], v[64:65], v[2:3], -v[37:38]
	v_fma_f64 v[37:38], v[64:65], v[6:7], -v[41:42]
	v_fma_f64 v[39:40], v[64:65], v[8:9], v[43:44]
	v_fma_f64 v[41:42], v[64:65], v[10:11], -v[45:46]
	v_fma_f64 v[43:44], v[64:65], v[216:217], v[47:48]
	v_fma_f64 v[47:48], v[64:65], v[16:17], v[51:52]
	;; [unrolled: 1-line block ×3, first 2 shown]
	v_fma_f64 v[45:46], v[64:65], v[218:219], -v[49:50]
	v_fma_f64 v[49:50], v[64:65], v[18:19], -v[53:54]
	;; [unrolled: 1-line block ×3, first 2 shown]
	v_fma_f64 v[68:69], v[64:65], v[220:221], v[72:73]
	v_fma_f64 v[64:65], v[64:65], v[222:223], -v[66:67]
	v_add_f64 v[0:1], v[224:225], -v[20:21]
	v_add_f64 v[4:5], v[228:229], -v[25:26]
	buffer_load_dword v25, off, s[36:39], 0 offset:324 ; 4-byte Folded Reload
	v_add_f64 v[2:3], v[226:227], -v[22:23]
	v_add_f64 v[8:9], v[236:237], -v[35:36]
	;; [unrolled: 1-line block ×14, first 2 shown]
	v_fma_f64 v[37:38], v[224:225], 2.0, -v[0:1]
	v_fma_f64 v[41:42], v[228:229], 2.0, -v[4:5]
	;; [unrolled: 1-line block ×4, first 2 shown]
	s_waitcnt vmcnt(0)
	ds_write_b128 v25, v[0:3] offset:64
	ds_write_b128 v25, v[37:40]
	buffer_load_dword v0, off, s[36:39], 0 offset:320 ; 4-byte Folded Reload
	v_fma_f64 v[43:44], v[230:231], 2.0, -v[6:7]
	v_fma_f64 v[47:48], v[238:239], 2.0, -v[10:11]
	;; [unrolled: 1-line block ×12, first 2 shown]
	s_waitcnt vmcnt(0)
	ds_write_b128 v0, v[41:44]
	ds_write_b128 v0, v[4:7] offset:64
	buffer_load_dword v0, off, s[36:39], 0 offset:316 ; 4-byte Folded Reload
	s_waitcnt vmcnt(0)
	ds_write_b128 v0, v[45:48]
	ds_write_b128 v0, v[8:11] offset:64
	buffer_load_dword v0, off, s[36:39], 0 offset:312 ; 4-byte Folded Reload
	;; [unrolled: 4-line block ×5, first 2 shown]
	s_waitcnt vmcnt(0)
	ds_write_b128 v0, v[232:235]
	ds_write_b128 v0, v[33:36] offset:64
	s_and_saveexec_b32 s1, vcc_lo
	s_cbranch_execz .LBB0_37
; %bb.36:
	buffer_load_dword v0, off, s[36:39], 0  ; 4-byte Folded Reload
	v_and_b32_e32 v1, 3, v31
	s_waitcnt vmcnt(0)
	v_and_or_b32 v0, 0x6f8, v0, v1
	v_lshlrev_b32_e32 v0, 4, v0
	ds_write_b128 v0, v[64:67]
	ds_write_b128 v0, v[216:219] offset:64
.LBB0_37:
	s_or_b32 exec_lo, exec_lo, s1
	s_waitcnt lgkmcnt(0)
	s_barrier
	buffer_gl0_inv
	ds_read_b128 v[220:223], v30
	ds_read_b128 v[224:227], v30 offset:1792
	ds_read_b128 v[0:3], v30 offset:15232
	;; [unrolled: 1-line block ×13, first 2 shown]
	s_and_saveexec_b32 s1, vcc_lo
	s_cbranch_execz .LBB0_39
; %bb.38:
	ds_read_b128 v[64:67], v30 offset:12544
	ds_read_b128 v[216:219], v30 offset:25984
.LBB0_39:
	s_or_b32 exec_lo, exec_lo, s1
	s_waitcnt lgkmcnt(3)
	v_mul_f64 v[25:26], v[62:63], v[22:23]
	v_mul_f64 v[33:34], v[62:63], v[20:21]
	;; [unrolled: 1-line block ×7, first 2 shown]
	s_waitcnt lgkmcnt(1)
	v_mul_f64 v[51:52], v[62:63], v[246:247]
	s_waitcnt lgkmcnt(0)
	v_mul_f64 v[68:69], v[62:63], v[18:19]
	v_mul_f64 v[41:42], v[62:63], v[4:5]
	v_mul_f64 v[45:46], v[62:63], v[8:9]
	v_mul_f64 v[49:50], v[62:63], v[12:13]
	s_barrier
	buffer_gl0_inv
	v_mul_f64 v[70:71], v[62:63], v[16:17]
	v_mul_f64 v[53:54], v[62:63], v[244:245]
	v_fma_f64 v[20:21], v[60:61], v[20:21], v[25:26]
	v_fma_f64 v[22:23], v[60:61], v[22:23], -v[33:34]
	v_fma_f64 v[25:26], v[60:61], v[0:1], v[35:36]
	v_fma_f64 v[33:34], v[60:61], v[2:3], -v[37:38]
	v_fma_f64 v[35:36], v[60:61], v[4:5], v[39:40]
	v_fma_f64 v[39:40], v[60:61], v[8:9], v[43:44]
	;; [unrolled: 1-line block ×5, first 2 shown]
	v_mul_f64 v[68:69], v[62:63], v[218:219]
	v_fma_f64 v[37:38], v[60:61], v[6:7], -v[41:42]
	v_fma_f64 v[41:42], v[60:61], v[10:11], -v[45:46]
	;; [unrolled: 1-line block ×3, first 2 shown]
	v_mul_f64 v[62:63], v[62:63], v[216:217]
	v_fma_f64 v[49:50], v[60:61], v[246:247], -v[53:54]
	v_fma_f64 v[53:54], v[60:61], v[18:19], -v[70:71]
	v_add_f64 v[0:1], v[220:221], -v[20:21]
	v_add_f64 v[2:3], v[222:223], -v[22:23]
	;; [unrolled: 1-line block ×9, first 2 shown]
	v_fma_f64 v[25:26], v[60:61], v[216:217], v[68:69]
	v_add_f64 v[10:11], v[234:235], -v[37:38]
	v_add_f64 v[14:15], v[230:231], -v[41:42]
	;; [unrolled: 1-line block ×4, first 2 shown]
	v_fma_f64 v[49:50], v[60:61], v[218:219], -v[62:63]
	v_add_f64 v[35:36], v[58:59], -v[53:54]
	v_fma_f64 v[37:38], v[220:221], 2.0, -v[0:1]
	v_fma_f64 v[39:40], v[222:223], 2.0, -v[2:3]
	;; [unrolled: 1-line block ×9, first 2 shown]
	v_add_f64 v[56:57], v[64:65], -v[25:26]
	buffer_load_dword v25, off, s[36:39], 0 offset:352 ; 4-byte Folded Reload
	v_fma_f64 v[47:48], v[234:235], 2.0, -v[10:11]
	v_fma_f64 v[62:63], v[230:231], 2.0, -v[14:15]
	;; [unrolled: 1-line block ×3, first 2 shown]
	s_waitcnt vmcnt(0)
	ds_write_b128 v25, v[0:3] offset:128
	ds_write_b128 v25, v[37:40]
	buffer_load_dword v0, off, s[36:39], 0 offset:348 ; 4-byte Folded Reload
	v_fma_f64 v[222:223], v[238:239], 2.0, -v[22:23]
	v_fma_f64 v[226:227], v[58:59], 2.0, -v[35:36]
	v_add_f64 v[58:59], v[66:67], -v[49:50]
	s_waitcnt vmcnt(0)
	ds_write_b128 v0, v[41:44]
	ds_write_b128 v0, v[4:7] offset:128
	buffer_load_dword v0, off, s[36:39], 0 offset:344 ; 4-byte Folded Reload
	s_waitcnt vmcnt(0)
	ds_write_b128 v0, v[45:48]
	ds_write_b128 v0, v[8:11] offset:128
	buffer_load_dword v0, off, s[36:39], 0 offset:340 ; 4-byte Folded Reload
	;; [unrolled: 4-line block ×5, first 2 shown]
	s_waitcnt vmcnt(0)
	ds_write_b128 v0, v[224:227]
	ds_write_b128 v0, v[33:36] offset:128
	s_and_saveexec_b32 s1, vcc_lo
	s_cbranch_execz .LBB0_41
; %bb.40:
	buffer_load_dword v4, off, s[36:39], 0  ; 4-byte Folded Reload
	v_fma_f64 v[2:3], v[66:67], 2.0, -v[58:59]
	v_fma_f64 v[0:1], v[64:65], 2.0, -v[56:57]
	v_and_b32_e32 v5, 7, v31
	s_waitcnt vmcnt(0)
	v_and_or_b32 v4, 0x6f0, v4, v5
	v_lshlrev_b32_e32 v4, 4, v4
	ds_write_b128 v4, v[0:3]
	ds_write_b128 v4, v[56:59] offset:128
.LBB0_41:
	s_or_b32 exec_lo, exec_lo, s1
	s_waitcnt lgkmcnt(0)
	s_barrier
	buffer_gl0_inv
	ds_read_b128 v[0:3], v30 offset:8960
	ds_read_b128 v[4:7], v30 offset:17920
	;; [unrolled: 1-line block ×7, first 2 shown]
	ds_read_b128 v[37:40], v30
	ds_read_b128 v[41:44], v30 offset:1792
	ds_read_b128 v[45:48], v30 offset:23296
	;; [unrolled: 1-line block ×7, first 2 shown]
	s_waitcnt lgkmcnt(0)
	s_barrier
	buffer_gl0_inv
	s_mov_b32 s2, 0xe8584caa
	s_mov_b32 s3, 0xbfebb67a
	;; [unrolled: 1-line block ×3, first 2 shown]
	v_mul_f64 v[51:52], v[94:95], v[0:1]
	v_mul_f64 v[53:54], v[90:91], v[4:5]
	;; [unrolled: 1-line block ×20, first 2 shown]
	s_mov_b32 s4, s2
	v_fma_f64 v[2:3], v[92:93], v[2:3], -v[51:52]
	v_fma_f64 v[6:7], v[88:89], v[6:7], -v[53:54]
	;; [unrolled: 1-line block ×3, first 2 shown]
	v_fma_f64 v[0:1], v[92:93], v[0:1], v[25:26]
	v_fma_f64 v[4:5], v[88:89], v[4:5], v[49:50]
	;; [unrolled: 1-line block ×3, first 2 shown]
	v_fma_f64 v[25:26], v[88:89], v[14:15], -v[74:75]
	v_fma_f64 v[14:15], v[92:93], v[16:17], v[228:229]
	v_fma_f64 v[16:17], v[92:93], v[18:19], -v[232:233]
	v_fma_f64 v[51:52], v[88:89], v[22:23], -v[234:235]
	v_fma_f64 v[18:19], v[92:93], v[33:34], v[236:237]
	v_fma_f64 v[22:23], v[92:93], v[64:65], v[244:245]
	v_fma_f64 v[33:34], v[92:93], v[66:67], -v[94:95]
	v_fma_f64 v[12:13], v[88:89], v[12:13], v[70:71]
	v_fma_f64 v[49:50], v[88:89], v[20:21], v[230:231]
	v_fma_f64 v[20:21], v[92:93], v[35:36], -v[238:239]
	v_fma_f64 v[45:46], v[88:89], v[45:46], v[240:241]
	v_fma_f64 v[47:48], v[88:89], v[47:48], -v[242:243]
	;; [unrolled: 2-line block ×3, first 2 shown]
	v_add_f64 v[64:65], v[2:3], v[6:7]
	v_add_f64 v[72:73], v[2:3], -v[6:7]
	v_add_f64 v[2:3], v[39:40], v[2:3]
	v_add_f64 v[94:95], v[43:44], v[10:11]
	;; [unrolled: 1-line block ×4, first 2 shown]
	v_add_f64 v[92:93], v[10:11], -v[25:26]
	v_add_f64 v[66:67], v[37:38], v[0:1]
	v_add_f64 v[88:89], v[0:1], -v[4:5]
	v_add_f64 v[90:91], v[41:42], v[8:9]
	v_add_f64 v[10:11], v[16:17], v[51:52]
	;; [unrolled: 1-line block ×3, first 2 shown]
	v_add_f64 v[228:229], v[16:17], -v[51:52]
	v_add_f64 v[70:71], v[8:9], v[12:13]
	v_add_f64 v[0:1], v[14:15], v[49:50]
	v_add_f64 v[216:217], v[8:9], -v[12:13]
	v_add_f64 v[8:9], v[18:19], v[45:46]
	v_add_f64 v[236:237], v[14:15], -v[49:50]
	v_add_f64 v[230:231], v[222:223], v[16:17]
	v_add_f64 v[16:17], v[20:21], v[47:48]
	;; [unrolled: 1-line block ×4, first 2 shown]
	v_fma_f64 v[14:15], v[64:65], -0.5, v[39:40]
	v_add_f64 v[64:65], v[224:225], v[18:19]
	v_add_f64 v[2:3], v[2:3], v[6:7]
	;; [unrolled: 1-line block ×3, first 2 shown]
	buffer_load_dword v25, off, s[36:39], 0 offset:372 ; 4-byte Folded Reload
	v_fma_f64 v[35:36], v[35:36], -0.5, v[37:38]
	v_fma_f64 v[39:40], v[74:75], -0.5, v[43:44]
	v_add_f64 v[74:75], v[18:19], -v[45:46]
	v_add_f64 v[240:241], v[60:61], v[22:23]
	v_add_f64 v[234:235], v[33:34], v[68:69]
	v_fma_f64 v[43:44], v[10:11], -0.5, v[222:223]
	v_add_f64 v[222:223], v[22:23], -v[53:54]
	v_add_f64 v[242:243], v[62:63], v[33:34]
	v_fma_f64 v[37:38], v[70:71], -0.5, v[41:42]
	v_fma_f64 v[41:42], v[0:1], -0.5, v[220:221]
	v_add_f64 v[0:1], v[66:67], v[4:5]
	v_fma_f64 v[66:67], v[8:9], -0.5, v[224:225]
	v_add_f64 v[4:5], v[90:91], v[12:13]
	v_add_f64 v[70:71], v[20:21], -v[47:48]
	v_fma_f64 v[90:91], v[16:17], -0.5, v[226:227]
	v_add_f64 v[220:221], v[33:34], -v[68:69]
	v_add_f64 v[33:34], v[218:219], v[49:50]
	v_fma_f64 v[10:11], v[88:89], s[4:5], v[14:15]
	v_fma_f64 v[14:15], v[88:89], s[2:3], v[14:15]
	v_add_f64 v[45:46], v[64:65], v[45:46]
	v_add_f64 v[47:48], v[238:239], v[47:48]
	v_fma_f64 v[60:61], v[232:233], -0.5, v[60:61]
	v_fma_f64 v[8:9], v[72:73], s[2:3], v[35:36]
	v_fma_f64 v[12:13], v[72:73], s[4:5], v[35:36]
	;; [unrolled: 1-line block ×4, first 2 shown]
	v_add_f64 v[35:36], v[230:231], v[51:52]
	v_fma_f64 v[39:40], v[236:237], s[4:5], v[43:44]
	v_fma_f64 v[43:44], v[236:237], s[2:3], v[43:44]
	v_fma_f64 v[62:63], v[234:235], -0.5, v[62:63]
	v_fma_f64 v[16:17], v[92:93], s[2:3], v[37:38]
	v_fma_f64 v[20:21], v[92:93], s[4:5], v[37:38]
	;; [unrolled: 1-line block ×4, first 2 shown]
	v_add_f64 v[92:93], v[240:241], v[53:54]
	v_fma_f64 v[64:65], v[70:71], s[2:3], v[66:67]
	v_fma_f64 v[88:89], v[70:71], s[4:5], v[66:67]
	;; [unrolled: 1-line block ×4, first 2 shown]
	v_add_f64 v[94:95], v[242:243], v[68:69]
	s_waitcnt vmcnt(0)
	ds_write_b128 v25, v[0:3]
	ds_write_b128 v25, v[8:11] offset:256
	ds_write_b128 v25, v[12:15] offset:512
	buffer_load_dword v0, off, s[36:39], 0 offset:368 ; 4-byte Folded Reload
	v_fma_f64 v[216:217], v[220:221], s[2:3], v[60:61]
	v_fma_f64 v[218:219], v[222:223], s[4:5], v[62:63]
	;; [unrolled: 1-line block ×4, first 2 shown]
	s_waitcnt vmcnt(0)
	ds_write_b128 v0, v[4:7]
	ds_write_b128 v0, v[16:19] offset:256
	ds_write_b128 v0, v[20:23] offset:512
	buffer_load_dword v0, off, s[36:39], 0 offset:364 ; 4-byte Folded Reload
	s_waitcnt vmcnt(0)
	ds_write_b128 v0, v[33:36]
	ds_write_b128 v0, v[37:40] offset:256
	ds_write_b128 v0, v[41:44] offset:512
	buffer_load_dword v0, off, s[36:39], 0 offset:360 ; 4-byte Folded Reload
	s_waitcnt vmcnt(0)
	ds_write_b128 v0, v[45:48]
	ds_write_b128 v0, v[64:67] offset:256
	ds_write_b128 v0, v[88:91] offset:512
	buffer_load_dword v0, off, s[36:39], 0 offset:356 ; 4-byte Folded Reload
	s_waitcnt vmcnt(0)
	ds_write_b128 v0, v[92:95]
	ds_write_b128 v0, v[216:219] offset:256
	ds_write_b128 v0, v[60:63] offset:512
	s_waitcnt lgkmcnt(0)
	s_barrier
	buffer_gl0_inv
	ds_read_b128 v[88:91], v30
	ds_read_b128 v[64:67], v30 offset:1792
	ds_read_b128 v[0:3], v30 offset:3840
	;; [unrolled: 1-line block ×13, first 2 shown]
	s_and_saveexec_b32 s1, s0
	s_cbranch_execz .LBB0_43
; %bb.42:
	ds_read_b128 v[60:63], v30 offset:3584
	ds_read_b128 v[56:59], v30 offset:7424
	;; [unrolled: 1-line block ×7, first 2 shown]
.LBB0_43:
	s_or_b32 exec_lo, exec_lo, s1
	s_waitcnt lgkmcnt(11)
	v_mul_f64 v[6:7], v[114:115], v[0:1]
	v_mul_f64 v[4:5], v[114:115], v[2:3]
	s_waitcnt lgkmcnt(9)
	v_mul_f64 v[8:9], v[110:111], v[250:251]
	v_mul_f64 v[10:11], v[110:111], v[248:249]
	;; [unrolled: 3-line block ×3, first 2 shown]
	v_mul_f64 v[16:17], v[118:119], v[246:247]
	v_mul_f64 v[18:19], v[118:119], v[244:245]
	;; [unrolled: 1-line block ×10, first 2 shown]
	s_waitcnt lgkmcnt(0)
	v_mul_f64 v[51:52], v[146:147], v[234:235]
	v_mul_f64 v[53:54], v[146:147], v[232:233]
	;; [unrolled: 1-line block ×6, first 2 shown]
	v_fma_f64 v[2:3], v[112:113], v[2:3], -v[6:7]
	v_mul_f64 v[6:7], v[102:103], v[242:243]
	v_fma_f64 v[0:1], v[112:113], v[0:1], v[4:5]
	v_mul_f64 v[4:5], v[106:107], v[236:237]
	v_fma_f64 v[8:9], v[108:109], v[248:249], v[8:9]
	v_fma_f64 v[10:11], v[108:109], v[250:251], -v[10:11]
	v_fma_f64 v[12:13], v[120:121], v[252:253], v[12:13]
	v_fma_f64 v[14:15], v[120:121], v[254:255], -v[14:15]
	;; [unrolled: 2-line block ×9, first 2 shown]
	v_fma_f64 v[43:44], v[128:129], v[216:217], v[43:44]
	v_fma_f64 v[6:7], v[100:101], v[240:241], v[6:7]
	v_fma_f64 v[45:46], v[128:129], v[218:219], -v[45:46]
	v_fma_f64 v[4:5], v[104:105], v[238:239], -v[4:5]
	s_mov_b32 s14, 0x37e14327
	s_mov_b32 s2, 0x36b3c0b5
	v_add_f64 v[68:69], v[0:1], v[12:13]
	v_add_f64 v[70:71], v[2:3], v[14:15]
	;; [unrolled: 1-line block ×4, first 2 shown]
	v_add_f64 v[8:9], v[8:9], -v[16:17]
	v_add_f64 v[10:11], v[10:11], -v[18:19]
	;; [unrolled: 1-line block ×4, first 2 shown]
	s_mov_b32 s15, 0x3fe948f6
	s_mov_b32 s3, 0x3fac98ee
	v_add_f64 v[16:17], v[25:26], v[51:52]
	v_add_f64 v[18:19], v[33:34], v[53:54]
	s_mov_b32 s18, 0xe976ee23
	s_mov_b32 s19, 0x3fe11646
	;; [unrolled: 1-line block ×5, first 2 shown]
	v_add_f64 v[100:101], v[20:21], v[6:7]
	v_add_f64 v[6:7], v[6:7], -v[20:21]
	v_add_f64 v[102:103], v[4:5], v[22:23]
	v_add_f64 v[4:5], v[22:23], -v[4:5]
	v_add_f64 v[20:21], v[25:26], -v[51:52]
	;; [unrolled: 1-line block ×3, first 2 shown]
	v_add_f64 v[25:26], v[35:36], v[47:48]
	v_add_f64 v[92:93], v[72:73], v[68:69]
	;; [unrolled: 1-line block ×4, first 2 shown]
	v_add_f64 v[35:36], v[35:36], -v[47:48]
	v_add_f64 v[37:38], v[37:38], -v[49:50]
	v_add_f64 v[49:50], v[39:40], v[43:44]
	v_add_f64 v[94:95], v[41:42], v[45:46]
	v_add_f64 v[39:40], v[43:44], -v[39:40]
	v_add_f64 v[41:42], v[45:46], -v[41:42]
	s_mov_b32 s20, s16
	s_mov_b32 s4, 0x429ad128
	;; [unrolled: 1-line block ×6, first 2 shown]
	v_add_f64 v[0:1], v[68:69], -v[100:101]
	v_add_f64 v[51:52], v[100:101], -v[72:73]
	;; [unrolled: 1-line block ×7, first 2 shown]
	v_add_f64 v[47:48], v[100:101], v[92:93]
	v_add_f64 v[92:93], v[102:103], v[104:105]
	v_add_f64 v[100:101], v[25:26], v[16:17]
	v_add_f64 v[102:103], v[33:34], v[18:19]
	v_add_f64 v[70:71], v[74:75], -v[70:71]
	v_add_f64 v[72:73], v[6:7], v[8:9]
	v_add_f64 v[74:75], v[4:5], v[10:11]
	v_add_f64 v[8:9], v[8:9], -v[12:13]
	v_add_f64 v[10:11], v[10:11], -v[14:15]
	v_add_f64 v[112:113], v[12:13], -v[6:7]
	v_add_f64 v[114:115], v[18:19], -v[94:95]
	v_add_f64 v[116:117], v[49:50], -v[25:26]
	v_add_f64 v[118:119], v[94:95], -v[33:34]
	v_add_f64 v[120:121], v[41:42], -v[37:38]
	v_add_f64 v[18:19], v[33:34], -v[18:19]
	v_mul_f64 v[104:105], v[0:1], s[14:15]
	v_mul_f64 v[108:109], v[51:52], s[2:3]
	;; [unrolled: 1-line block ×4, first 2 shown]
	v_add_f64 v[33:34], v[41:42], v[37:38]
	v_add_f64 v[41:42], v[22:23], -v[41:42]
	s_mov_b32 s13, 0xbff2aaaa
	v_add_f64 v[0:1], v[88:89], v[47:48]
	v_add_f64 v[2:3], v[90:91], v[92:93]
	v_add_f64 v[88:89], v[14:15], -v[4:5]
	v_add_f64 v[90:91], v[16:17], -v[49:50]
	v_mul_f64 v[4:5], v[43:44], s[18:19]
	v_mul_f64 v[43:44], v[45:46], s[18:19]
	v_add_f64 v[45:46], v[39:40], -v[35:36]
	v_add_f64 v[49:50], v[49:50], v[100:101]
	v_add_f64 v[94:95], v[94:95], v[102:103]
	;; [unrolled: 1-line block ×4, first 2 shown]
	v_mul_f64 v[72:73], v[8:9], s[4:5]
	v_mul_f64 v[74:75], v[10:11], s[4:5]
	v_add_f64 v[16:17], v[25:26], -v[16:17]
	v_add_f64 v[25:26], v[39:40], v[35:36]
	v_fma_f64 v[51:52], v[51:52], s[2:3], v[104:105]
	v_fma_f64 v[100:101], v[68:69], s[16:17], -v[108:109]
	v_fma_f64 v[68:69], v[68:69], s[20:21], -v[104:105]
	v_add_f64 v[104:105], v[35:36], -v[20:21]
	v_add_f64 v[108:109], v[37:38], -v[22:23]
	v_fma_f64 v[53:54], v[53:54], s[2:3], v[106:107]
	v_fma_f64 v[102:103], v[70:71], s[16:17], -v[110:111]
	v_fma_f64 v[70:71], v[70:71], s[20:21], -v[106:107]
	v_mul_f64 v[37:38], v[114:115], s[14:15]
	v_add_f64 v[39:40], v[20:21], -v[39:40]
	v_mul_f64 v[35:36], v[90:91], s[14:15]
	v_fma_f64 v[106:107], v[112:113], s[22:23], v[4:5]
	v_fma_f64 v[8:9], v[8:9], s[4:5], -v[4:5]
	v_mul_f64 v[90:91], v[120:121], s[18:19]
	v_add_f64 v[4:5], v[64:65], v[49:50]
	v_add_f64 v[6:7], v[66:67], v[94:95]
	v_mul_f64 v[64:65], v[116:117], s[2:3]
	v_mul_f64 v[66:67], v[118:119], s[2:3]
	;; [unrolled: 1-line block ×3, first 2 shown]
	s_mov_b32 s25, 0x3fd5d0dc
	s_mov_b32 s24, s22
	v_fma_f64 v[47:48], v[47:48], s[12:13], v[0:1]
	v_fma_f64 v[92:93], v[92:93], s[12:13], v[2:3]
	;; [unrolled: 1-line block ×3, first 2 shown]
	v_fma_f64 v[10:11], v[10:11], s[4:5], -v[43:44]
	v_mul_f64 v[120:121], v[104:105], s[4:5]
	v_mul_f64 v[114:115], v[108:109], s[4:5]
	v_fma_f64 v[43:44], v[112:113], s[24:25], -v[72:73]
	v_fma_f64 v[72:73], v[88:89], s[24:25], -v[74:75]
	v_add_f64 v[20:21], v[25:26], v[20:21]
	v_add_f64 v[22:23], v[33:34], v[22:23]
	s_mov_b32 s26, 0x37c3f68c
	s_mov_b32 s27, 0xbfdc38aa
	s_barrier
	buffer_gl0_inv
	v_fma_f64 v[25:26], v[49:50], s[12:13], v[4:5]
	v_fma_f64 v[33:34], v[94:95], s[12:13], v[6:7]
	;; [unrolled: 1-line block ×4, first 2 shown]
	v_fma_f64 v[64:65], v[16:17], s[16:17], -v[64:65]
	v_fma_f64 v[66:67], v[18:19], s[16:17], -v[66:67]
	;; [unrolled: 1-line block ×4, first 2 shown]
	v_fma_f64 v[35:36], v[41:42], s[22:23], v[90:91]
	v_fma_f64 v[37:38], v[39:40], s[22:23], v[45:46]
	v_fma_f64 v[90:91], v[108:109], s[4:5], -v[90:91]
	v_fma_f64 v[39:40], v[39:40], s[24:25], -v[120:121]
	;; [unrolled: 1-line block ×4, first 2 shown]
	v_add_f64 v[51:52], v[51:52], v[47:48]
	v_add_f64 v[53:54], v[53:54], v[92:93]
	;; [unrolled: 1-line block ×6, first 2 shown]
	v_fma_f64 v[70:71], v[14:15], s[26:27], v[110:111]
	v_fma_f64 v[92:93], v[12:13], s[26:27], v[106:107]
	;; [unrolled: 1-line block ×6, first 2 shown]
	v_add_f64 v[49:50], v[49:50], v[25:26]
	v_add_f64 v[104:105], v[94:95], v[33:34]
	;; [unrolled: 1-line block ×4, first 2 shown]
	v_fma_f64 v[110:111], v[22:23], s[26:27], v[35:36]
	v_fma_f64 v[112:113], v[20:21], s[26:27], v[37:38]
	v_add_f64 v[108:109], v[18:19], v[33:34]
	v_fma_f64 v[116:117], v[20:21], s[26:27], v[39:40]
	v_fma_f64 v[114:115], v[22:23], s[26:27], v[41:42]
	v_add_f64 v[106:107], v[66:67], v[33:34]
	;; [unrolled: 3-line block ×3, first 2 shown]
	v_add_f64 v[10:11], v[53:54], -v[92:93]
	v_add_f64 v[12:13], v[72:73], v[47:48]
	v_add_f64 v[14:15], v[68:69], -v[43:44]
	v_add_f64 v[16:17], v[74:75], -v[100:101]
	v_add_f64 v[18:19], v[102:103], v[88:89]
	v_add_f64 v[20:21], v[100:101], v[74:75]
	v_add_f64 v[22:23], v[88:89], -v[102:103]
	v_add_f64 v[33:34], v[47:48], -v[72:73]
	v_add_f64 v[35:36], v[43:44], v[68:69]
	v_add_f64 v[37:38], v[51:52], -v[70:71]
	v_add_f64 v[39:40], v[92:93], v[53:54]
	v_add_f64 v[41:42], v[110:111], v[49:50]
	v_add_f64 v[43:44], v[104:105], -v[112:113]
	v_add_f64 v[45:46], v[114:115], v[25:26]
	v_add_f64 v[47:48], v[108:109], -v[116:117]
	v_add_f64 v[64:65], v[94:95], -v[90:91]
	v_add_f64 v[66:67], v[118:119], v[106:107]
	v_add_f64 v[88:89], v[90:91], v[94:95]
	v_add_f64 v[90:91], v[106:107], -v[118:119]
	v_add_f64 v[92:93], v[25:26], -v[114:115]
	v_add_f64 v[94:95], v[116:117], v[108:109]
	v_add_f64 v[100:101], v[49:50], -v[110:111]
	v_add_f64 v[102:103], v[112:113], v[104:105]
	ds_write_b128 v32, v[0:3]
	ds_write_b128 v32, v[8:11] offset:768
	ds_write_b128 v32, v[12:15] offset:1536
	;; [unrolled: 1-line block ×6, first 2 shown]
	ds_write_b128 v24, v[4:7]
	ds_write_b128 v24, v[41:44] offset:768
	ds_write_b128 v24, v[45:48] offset:1536
	;; [unrolled: 1-line block ×6, first 2 shown]
	s_and_saveexec_b32 s1, s0
	s_cbranch_execz .LBB0_45
; %bb.44:
	s_clause 0x7
	buffer_load_dword v24, off, s[36:39], 0 offset:380
	buffer_load_dword v25, off, s[36:39], 0 offset:384
	;; [unrolled: 1-line block ×8, first 2 shown]
	v_mul_f64 v[0:1], v[98:99], v[164:165]
	v_mul_f64 v[4:5], v[86:87], v[160:161]
	;; [unrolled: 1-line block ×8, first 2 shown]
	v_fma_f64 v[0:1], v[96:97], v[166:167], -v[0:1]
	v_fma_f64 v[4:5], v[84:85], v[162:163], -v[4:5]
	v_fma_f64 v[10:11], v[96:97], v[164:165], v[10:11]
	v_fma_f64 v[14:15], v[84:85], v[160:161], v[14:15]
	;; [unrolled: 1-line block ×4, first 2 shown]
	v_fma_f64 v[20:21], v[76:77], v[150:151], -v[20:21]
	v_fma_f64 v[22:23], v[80:81], v[154:155], -v[22:23]
	v_add_f64 v[36:37], v[16:17], -v[18:19]
	v_add_f64 v[16:17], v[18:19], v[16:17]
	v_add_f64 v[18:19], v[22:23], -v[20:21]
	s_waitcnt vmcnt(4)
	v_mul_f64 v[2:3], v[26:27], v[56:57]
	s_waitcnt vmcnt(0)
	v_mul_f64 v[6:7], v[34:35], v[156:157]
	v_mul_f64 v[8:9], v[26:27], v[58:59]
	;; [unrolled: 1-line block ×3, first 2 shown]
	v_fma_f64 v[2:3], v[24:25], v[58:59], -v[2:3]
	v_fma_f64 v[6:7], v[32:33], v[158:159], -v[6:7]
	v_fma_f64 v[8:9], v[24:25], v[56:57], v[8:9]
	v_fma_f64 v[12:13], v[32:33], v[156:157], v[12:13]
	v_add_f64 v[24:25], v[2:3], v[0:1]
	v_add_f64 v[26:27], v[6:7], v[4:5]
	;; [unrolled: 1-line block ×4, first 2 shown]
	v_add_f64 v[12:13], v[12:13], -v[14:15]
	v_add_f64 v[14:15], v[20:21], v[22:23]
	v_add_f64 v[8:9], v[8:9], -v[10:11]
	v_add_f64 v[4:5], v[6:7], -v[4:5]
	;; [unrolled: 1-line block ×3, first 2 shown]
	v_add_f64 v[10:11], v[26:27], v[24:25]
	v_add_f64 v[22:23], v[32:33], -v[16:17]
	v_add_f64 v[0:1], v[34:35], v[32:33]
	v_add_f64 v[2:3], v[36:37], -v[12:13]
	v_add_f64 v[20:21], v[24:25], -v[14:15]
	;; [unrolled: 1-line block ×6, first 2 shown]
	v_add_f64 v[12:13], v[36:37], v[12:13]
	v_add_f64 v[4:5], v[18:19], v[4:5]
	v_add_f64 v[18:19], v[6:7], -v[18:19]
	v_add_f64 v[24:25], v[26:27], -v[24:25]
	;; [unrolled: 1-line block ×3, first 2 shown]
	v_add_f64 v[10:11], v[14:15], v[10:11]
	v_add_f64 v[14:15], v[14:15], -v[26:27]
	v_add_f64 v[44:45], v[16:17], v[0:1]
	v_add_f64 v[16:17], v[16:17], -v[34:35]
	v_mul_f64 v[36:37], v[2:3], s[18:19]
	v_mul_f64 v[20:21], v[20:21], s[14:15]
	;; [unrolled: 1-line block ×6, first 2 shown]
	v_add_f64 v[8:9], v[12:13], v[8:9]
	v_add_f64 v[4:5], v[4:5], v[6:7]
	;; [unrolled: 1-line block ×3, first 2 shown]
	v_mul_f64 v[26:27], v[14:15], s[2:3]
	v_add_f64 v[0:1], v[60:61], v[44:45]
	v_mul_f64 v[34:35], v[16:17], s[2:3]
	v_fma_f64 v[6:7], v[46:47], s[22:23], v[36:37]
	v_fma_f64 v[12:13], v[14:15], s[2:3], v[20:21]
	;; [unrolled: 1-line block ×3, first 2 shown]
	v_fma_f64 v[16:17], v[46:47], s[24:25], -v[48:49]
	v_fma_f64 v[36:37], v[38:39], s[4:5], -v[36:37]
	;; [unrolled: 1-line block ×5, first 2 shown]
	v_fma_f64 v[10:11], v[10:11], s[12:13], v[2:3]
	v_fma_f64 v[24:25], v[24:25], s[16:17], -v[26:27]
	v_fma_f64 v[26:27], v[18:19], s[22:23], v[40:41]
	v_fma_f64 v[18:19], v[18:19], s[24:25], -v[50:51]
	;; [unrolled: 2-line block ×3, first 2 shown]
	v_fma_f64 v[34:35], v[8:9], s[26:27], v[6:7]
	v_fma_f64 v[16:17], v[8:9], s[26:27], v[16:17]
	;; [unrolled: 1-line block ×3, first 2 shown]
	v_add_f64 v[12:13], v[12:13], v[10:11]
	v_add_f64 v[20:21], v[20:21], v[10:11]
	v_fma_f64 v[36:37], v[4:5], s[26:27], v[26:27]
	v_fma_f64 v[42:43], v[4:5], s[26:27], v[18:19]
	;; [unrolled: 1-line block ×3, first 2 shown]
	v_add_f64 v[32:33], v[32:33], v[40:41]
	v_add_f64 v[24:25], v[24:25], v[10:11]
	;; [unrolled: 1-line block ×6, first 2 shown]
	v_add_f64 v[22:23], v[20:21], -v[16:17]
	v_add_f64 v[26:27], v[12:13], -v[34:35]
	;; [unrolled: 1-line block ×3, first 2 shown]
	v_add_f64 v[12:13], v[4:5], v[32:33]
	buffer_load_dword v33, off, s[36:39], 0 offset:244 ; 4-byte Folded Reload
	v_add_f64 v[14:15], v[24:25], -v[8:9]
	v_add_f64 v[18:19], v[8:9], v[24:25]
	v_add_f64 v[24:25], v[36:37], v[38:39]
	;; [unrolled: 1-line block ×3, first 2 shown]
	v_add_f64 v[8:9], v[44:45], -v[42:43]
	v_add_f64 v[4:5], v[38:39], -v[36:37]
	v_mov_b32_e32 v32, 4
	s_waitcnt vmcnt(0)
	v_lshlrev_b32_sdwa v32, v32, v33 dst_sel:DWORD dst_unused:UNUSED_PAD src0_sel:DWORD src1_sel:WORD_0
	ds_write_b128 v32, v[0:3] offset:21504
	ds_write_b128 v32, v[24:27] offset:22272
	;; [unrolled: 1-line block ×7, first 2 shown]
.LBB0_45:
	s_or_b32 exec_lo, exec_lo, s1
	s_waitcnt lgkmcnt(0)
	s_barrier
	buffer_gl0_inv
	ds_read_b128 v[0:3], v30 offset:10752
	ds_read_b128 v[4:7], v30 offset:16128
	;; [unrolled: 1-line block ×4, first 2 shown]
	ds_read_b128 v[16:19], v30
	ds_read_b128 v[20:23], v30 offset:1792
	ds_read_b128 v[24:27], v30 offset:12544
	;; [unrolled: 1-line block ×10, first 2 shown]
	s_mov_b32 s4, 0x134454ff
	s_mov_b32 s5, 0xbfee6f0e
	;; [unrolled: 1-line block ×8, first 2 shown]
	s_waitcnt lgkmcnt(14)
	v_mul_f64 v[52:53], v[182:183], v[2:3]
	s_waitcnt lgkmcnt(13)
	v_mul_f64 v[54:55], v[178:179], v[6:7]
	;; [unrolled: 2-line block ×4, first 2 shown]
	v_mul_f64 v[72:73], v[182:183], v[0:1]
	v_mul_f64 v[74:75], v[178:179], v[4:5]
	;; [unrolled: 1-line block ×4, first 2 shown]
	s_waitcnt lgkmcnt(7)
	v_mul_f64 v[82:83], v[198:199], v[32:33]
	s_waitcnt lgkmcnt(3)
	v_mul_f64 v[84:85], v[210:211], v[50:51]
	v_mul_f64 v[80:81], v[186:187], v[46:47]
	s_waitcnt lgkmcnt(1)
	v_mul_f64 v[92:93], v[214:215], v[62:63]
	v_mul_f64 v[94:95], v[214:215], v[60:61]
	;; [unrolled: 1-line block ×5, first 2 shown]
	s_waitcnt lgkmcnt(0)
	v_mul_f64 v[96:97], v[190:191], v[64:65]
	s_mov_b32 s0, 0x372fe950
	s_mov_b32 s1, 0x3fd3c6ef
	v_fma_f64 v[0:1], v[180:181], v[0:1], v[52:53]
	v_fma_f64 v[4:5], v[176:177], v[4:5], v[54:55]
	;; [unrolled: 1-line block ×4, first 2 shown]
	v_fma_f64 v[2:3], v[180:181], v[2:3], -v[72:73]
	v_fma_f64 v[6:7], v[176:177], v[6:7], -v[74:75]
	v_mul_f64 v[52:53], v[186:187], v[44:45]
	v_mul_f64 v[54:55], v[202:203], v[26:27]
	;; [unrolled: 1-line block ×6, first 2 shown]
	v_fma_f64 v[10:11], v[168:169], v[10:11], -v[76:77]
	v_fma_f64 v[14:15], v[172:173], v[14:15], -v[78:79]
	v_fma_f64 v[44:45], v[184:185], v[44:45], v[80:81]
	v_mul_f64 v[76:77], v[190:191], v[66:67]
	v_fma_f64 v[34:35], v[196:197], v[34:35], -v[82:83]
	v_fma_f64 v[48:49], v[208:209], v[48:49], v[84:85]
	v_fma_f64 v[40:41], v[204:205], v[40:41], v[88:89]
	v_fma_f64 v[42:43], v[204:205], v[42:43], -v[90:91]
	v_fma_f64 v[50:51], v[208:209], v[50:51], -v[86:87]
	;; [unrolled: 1-line block ×3, first 2 shown]
	v_add_f64 v[78:79], v[0:1], v[4:5]
	v_add_f64 v[88:89], v[0:1], -v[4:5]
	v_add_f64 v[98:99], v[8:9], v[12:13]
	v_add_f64 v[82:83], v[12:13], -v[4:5]
	v_add_f64 v[80:81], v[2:3], v[6:7]
	v_fma_f64 v[46:47], v[184:185], v[46:47], -v[52:53]
	v_fma_f64 v[24:25], v[200:201], v[24:25], v[54:55]
	v_fma_f64 v[52:53], v[192:193], v[56:57], v[70:71]
	v_fma_f64 v[32:33], v[196:197], v[32:33], v[74:75]
	v_fma_f64 v[26:27], v[200:201], v[26:27], -v[68:69]
	v_fma_f64 v[54:55], v[192:193], v[58:59], -v[72:73]
	v_fma_f64 v[56:57], v[212:213], v[60:61], v[92:93]
	v_fma_f64 v[58:59], v[212:213], v[62:63], -v[94:95]
	v_add_f64 v[60:61], v[16:17], v[8:9]
	v_add_f64 v[62:63], v[10:11], -v[14:15]
	v_add_f64 v[68:69], v[18:19], v[10:11]
	v_add_f64 v[70:71], v[10:11], v[14:15]
	v_add_f64 v[74:75], v[2:3], -v[6:7]
	v_fma_f64 v[64:65], v[188:189], v[64:65], v[76:77]
	v_add_f64 v[76:77], v[8:9], -v[0:1]
	v_add_f64 v[90:91], v[10:11], -v[2:3]
	;; [unrolled: 1-line block ×3, first 2 shown]
	v_fma_f64 v[72:73], v[78:79], -0.5, v[16:17]
	v_add_f64 v[78:79], v[8:9], -v[12:13]
	v_fma_f64 v[16:17], v[98:99], -0.5, v[16:17]
	v_add_f64 v[8:9], v[0:1], -v[8:9]
	;; [unrolled: 2-line block ×3, first 2 shown]
	v_add_f64 v[92:93], v[14:15], -v[6:7]
	v_add_f64 v[84:85], v[24:25], v[52:53]
	v_add_f64 v[94:95], v[44:45], v[32:33]
	;; [unrolled: 1-line block ×3, first 2 shown]
	v_add_f64 v[100:101], v[46:47], -v[34:35]
	v_add_f64 v[102:103], v[26:27], -v[54:55]
	v_add_f64 v[114:115], v[26:27], v[54:55]
	v_add_f64 v[0:1], v[60:61], v[0:1]
	v_add_f64 v[96:97], v[6:7], -v[14:15]
	v_add_f64 v[2:3], v[68:69], v[2:3]
	v_fma_f64 v[18:19], v[70:71], -0.5, v[18:19]
	v_add_f64 v[112:113], v[22:23], v[46:47]
	v_add_f64 v[104:105], v[44:45], -v[24:25]
	v_add_f64 v[76:77], v[76:77], v[82:83]
	v_add_f64 v[108:109], v[24:25], -v[44:45]
	v_add_f64 v[44:45], v[44:45], -v[32:33]
	v_fma_f64 v[60:61], v[62:63], s[4:5], v[72:73]
	v_fma_f64 v[68:69], v[62:63], s[14:15], v[72:73]
	;; [unrolled: 1-line block ×6, first 2 shown]
	v_add_f64 v[82:83], v[8:9], v[86:87]
	v_fma_f64 v[84:85], v[84:85], -0.5, v[20:21]
	v_fma_f64 v[20:21], v[94:95], -0.5, v[20:21]
	v_add_f64 v[86:87], v[90:91], v[92:93]
	v_add_f64 v[90:91], v[42:43], v[58:59]
	;; [unrolled: 1-line block ×3, first 2 shown]
	v_add_f64 v[106:107], v[32:33], -v[52:53]
	v_add_f64 v[0:1], v[0:1], v[4:5]
	v_add_f64 v[96:97], v[10:11], v[96:97]
	v_add_f64 v[2:3], v[2:3], v[6:7]
	v_fma_f64 v[4:5], v[88:89], s[4:5], v[18:19]
	v_fma_f64 v[18:19], v[88:89], s[14:15], v[18:19]
	v_add_f64 v[110:111], v[52:53], -v[32:33]
	v_add_f64 v[116:117], v[50:51], -v[42:43]
	;; [unrolled: 1-line block ×3, first 2 shown]
	v_fma_f64 v[6:7], v[74:75], s[2:3], v[60:61]
	v_fma_f64 v[8:9], v[74:75], s[12:13], v[68:69]
	;; [unrolled: 1-line block ×5, first 2 shown]
	v_add_f64 v[72:73], v[46:47], v[34:35]
	v_fma_f64 v[68:69], v[88:89], s[2:3], v[80:81]
	v_add_f64 v[70:71], v[98:99], v[24:25]
	v_fma_f64 v[74:75], v[100:101], s[4:5], v[84:85]
	;; [unrolled: 2-line block ×4, first 2 shown]
	v_fma_f64 v[98:99], v[114:115], -0.5, v[22:23]
	v_add_f64 v[24:25], v[24:25], -v[52:53]
	v_add_f64 v[0:1], v[0:1], v[12:13]
	v_add_f64 v[2:3], v[2:3], v[14:15]
	v_fma_f64 v[14:15], v[78:79], s[12:13], v[4:5]
	v_fma_f64 v[18:19], v[78:79], s[2:3], v[18:19]
	v_add_f64 v[78:79], v[42:43], -v[58:59]
	v_fma_f64 v[20:21], v[102:103], s[4:5], v[20:21]
	v_fma_f64 v[4:5], v[76:77], s[0:1], v[6:7]
	;; [unrolled: 1-line block ×5, first 2 shown]
	v_add_f64 v[82:83], v[38:39], v[50:51]
	v_fma_f64 v[22:23], v[72:73], -0.5, v[22:23]
	v_fma_f64 v[10:11], v[86:87], s[0:1], v[68:69]
	v_add_f64 v[68:69], v[36:37], v[48:49]
	v_fma_f64 v[6:7], v[86:87], s[0:1], v[62:63]
	v_add_f64 v[60:61], v[70:71], v[52:53]
	v_fma_f64 v[52:53], v[102:103], s[2:3], v[74:75]
	v_fma_f64 v[70:71], v[80:81], -0.5, v[36:37]
	v_add_f64 v[72:73], v[50:51], -v[66:67]
	v_fma_f64 v[74:75], v[102:103], s[12:13], v[84:85]
	v_fma_f64 v[84:85], v[90:91], -0.5, v[38:39]
	v_add_f64 v[86:87], v[48:49], -v[64:65]
	v_fma_f64 v[36:37], v[88:89], -0.5, v[36:37]
	v_add_f64 v[90:91], v[40:41], -v[56:57]
	v_fma_f64 v[38:39], v[92:93], -0.5, v[38:39]
	v_add_f64 v[88:89], v[112:113], v[26:27]
	v_fma_f64 v[76:77], v[100:101], s[2:3], v[94:95]
	v_fma_f64 v[92:93], v[44:45], s[14:15], v[98:99]
	v_add_f64 v[94:95], v[46:47], -v[26:27]
	v_add_f64 v[102:103], v[34:35], -v[54:55]
	v_add_f64 v[62:63], v[104:105], v[106:107]
	v_fma_f64 v[98:99], v[44:45], s[4:5], v[98:99]
	v_add_f64 v[26:27], v[26:27], -v[46:47]
	v_fma_f64 v[104:105], v[24:25], s[4:5], v[22:23]
	v_add_f64 v[46:47], v[54:55], -v[34:35]
	v_fma_f64 v[22:23], v[24:25], s[14:15], v[22:23]
	v_add_f64 v[68:69], v[68:69], v[40:41]
	v_add_f64 v[82:83], v[82:83], v[42:43]
	;; [unrolled: 1-line block ×3, first 2 shown]
	v_add_f64 v[108:109], v[48:49], -v[40:41]
	v_fma_f64 v[106:107], v[72:73], s[4:5], v[70:71]
	v_add_f64 v[110:111], v[64:65], -v[56:57]
	v_fma_f64 v[70:71], v[72:73], s[14:15], v[70:71]
	v_fma_f64 v[114:115], v[86:87], s[14:15], v[84:85]
	;; [unrolled: 1-line block ×3, first 2 shown]
	v_add_f64 v[40:41], v[40:41], -v[48:49]
	v_add_f64 v[48:49], v[56:57], -v[64:65]
	v_fma_f64 v[120:121], v[90:91], s[4:5], v[38:39]
	v_add_f64 v[42:43], v[42:43], -v[50:51]
	v_add_f64 v[50:51], v[58:59], -v[66:67]
	v_fma_f64 v[36:37], v[78:79], s[4:5], v[36:37]
	v_fma_f64 v[38:39], v[90:91], s[14:15], v[38:39]
	;; [unrolled: 1-line block ×3, first 2 shown]
	v_add_f64 v[54:55], v[88:89], v[54:55]
	v_fma_f64 v[88:89], v[24:25], s[12:13], v[92:93]
	v_add_f64 v[92:93], v[94:95], v[102:103]
	v_fma_f64 v[94:95], v[24:25], s[2:3], v[98:99]
	v_fma_f64 v[98:99], v[44:45], s[12:13], v[104:105]
	v_add_f64 v[46:47], v[26:27], v[46:47]
	v_fma_f64 v[100:101], v[100:101], s[12:13], v[20:21]
	v_fma_f64 v[44:45], v[44:45], s[2:3], v[22:23]
	v_add_f64 v[56:57], v[68:69], v[56:57]
	v_add_f64 v[58:59], v[82:83], v[58:59]
	v_fma_f64 v[68:69], v[78:79], s[2:3], v[106:107]
	v_add_f64 v[102:103], v[108:109], v[110:111]
	v_fma_f64 v[82:83], v[90:91], s[12:13], v[114:115]
	v_add_f64 v[106:107], v[116:117], v[118:119]
	v_fma_f64 v[70:71], v[78:79], s[12:13], v[70:71]
	v_fma_f64 v[78:79], v[72:73], s[2:3], v[112:113]
	v_add_f64 v[104:105], v[40:41], v[48:49]
	v_fma_f64 v[108:109], v[86:87], s[12:13], v[120:121]
	v_add_f64 v[110:111], v[42:43], v[50:51]
	v_fma_f64 v[72:73], v[72:73], s[12:13], v[36:37]
	v_fma_f64 v[86:87], v[86:87], s[2:3], v[38:39]
	;; [unrolled: 1-line block ×5, first 2 shown]
	v_add_f64 v[20:21], v[60:61], v[32:33]
	v_add_f64 v[22:23], v[54:55], v[34:35]
	v_fma_f64 v[24:25], v[62:63], s[0:1], v[52:53]
	v_fma_f64 v[26:27], v[92:93], s[0:1], v[88:89]
	;; [unrolled: 1-line block ×8, first 2 shown]
	v_add_f64 v[44:45], v[56:57], v[64:65]
	v_add_f64 v[46:47], v[58:59], v[66:67]
	v_fma_f64 v[48:49], v[102:103], s[0:1], v[68:69]
	v_fma_f64 v[50:51], v[106:107], s[0:1], v[82:83]
	;; [unrolled: 1-line block ×8, first 2 shown]
	ds_write_b128 v30, v[0:3]
	ds_write_b128 v30, v[4:7] offset:5376
	ds_write_b128 v30, v[12:15] offset:10752
	;; [unrolled: 1-line block ×14, first 2 shown]
	s_waitcnt lgkmcnt(0)
	s_barrier
	buffer_gl0_inv
	ds_read_b128 v[0:3], v30
	ds_read_b128 v[4:7], v30 offset:1792
	s_clause 0x3
	buffer_load_dword v38, off, s[36:39], 0 offset:20
	buffer_load_dword v39, off, s[36:39], 0 offset:24
	;; [unrolled: 1-line block ×4, first 2 shown]
	ds_read_b128 v[8:11], v30 offset:13440
	s_clause 0x1
	buffer_load_dword v12, off, s[36:39], 0 offset:12
	buffer_load_dword v13, off, s[36:39], 0 offset:16
	v_mad_u64_u32 v[36:37], null, s8, v31, 0
	s_mov_b32 s2, 0x13813814
	s_mov_b32 s3, 0x3f438138
	s_mul_hi_u32 s1, s8, 0x348
	ds_read_b128 v[16:19], v30 offset:10752
	s_waitcnt vmcnt(2) lgkmcnt(3)
	v_mul_f64 v[20:21], v[40:41], v[2:3]
	v_mul_f64 v[22:23], v[40:41], v[0:1]
	s_waitcnt vmcnt(1)
	v_mov_b32_e32 v25, v12
	s_waitcnt vmcnt(0)
	ds_read_b128 v[12:15], v30 offset:15232
	s_clause 0x7
	buffer_load_dword v58, off, s[36:39], 0 offset:148
	buffer_load_dword v59, off, s[36:39], 0 offset:152
	;; [unrolled: 1-line block ×8, first 2 shown]
	v_mad_u64_u32 v[26:27], null, s10, v25, 0
	v_mov_b32_e32 v24, v27
	v_fma_f64 v[34:35], v[38:39], v[0:1], v[20:21]
	v_fma_f64 v[38:39], v[38:39], v[2:3], -v[22:23]
	ds_read_b128 v[0:3], v30 offset:17024
	v_mad_u64_u32 v[20:21], null, s11, v25, v[24:25]
	v_mov_b32_e32 v21, v37
	v_mad_u64_u32 v[50:51], null, s9, v31, v[21:22]
	v_mov_b32_e32 v27, v20
	v_mov_b32_e32 v37, v50
	v_mul_f64 v[24:25], v[34:35], s[2:3]
	s_waitcnt vmcnt(4) lgkmcnt(3)
	v_mul_f64 v[32:33], v[60:61], v[10:11]
	s_waitcnt vmcnt(0)
	v_mul_f64 v[42:43], v[54:55], v[6:7]
	v_mul_f64 v[44:45], v[54:55], v[4:5]
	s_clause 0x3
	buffer_load_dword v54, off, s[36:39], 0 offset:132
	buffer_load_dword v55, off, s[36:39], 0 offset:136
	;; [unrolled: 1-line block ×4, first 2 shown]
	v_mul_f64 v[40:41], v[60:61], v[8:9]
	ds_read_b128 v[20:23], v30 offset:3584
	v_fma_f64 v[8:9], v[58:59], v[8:9], v[32:33]
	v_lshlrev_b64 v[31:32], 4, v[26:27]
	v_fma_f64 v[33:34], v[52:53], v[4:5], v[42:43]
	v_mul_f64 v[26:27], v[38:39], s[2:3]
	v_fma_f64 v[10:11], v[58:59], v[10:11], -v[40:41]
	v_add_co_u32 v43, s0, s6, v31
	v_add_co_ci_u32_e64 v50, s0, s7, v32, s0
	v_lshlrev_b64 v[31:32], 4, v[36:37]
	v_fma_f64 v[35:36], v[52:53], v[6:7], -v[44:45]
	ds_read_b128 v[4:7], v30 offset:5376
	s_mul_i32 s6, s8, 0xfffffd28
	v_add_co_u32 v43, s0, v43, v31
	v_add_co_ci_u32_e64 v44, s0, v50, v32, s0
	s_mul_i32 s0, s9, 0x348
	v_mul_f64 v[8:9], v[8:9], s[2:3]
	s_add_i32 s1, s1, s0
	s_mul_i32 s0, s8, 0x348
	v_mul_f64 v[10:11], v[10:11], s[2:3]
	s_lshl_b64 s[4:5], s[0:1], 4
	s_mul_hi_u32 s0, s8, 0xfffffd28
	s_mul_i32 s1, s9, 0xfffffd28
	s_sub_i32 s0, s0, s8
	s_add_i32 s7, s0, s1
	s_lshl_b64 s[6:7], s[6:7], 4
	s_waitcnt vmcnt(0) lgkmcnt(3)
	v_mul_f64 v[46:47], v[56:57], v[14:15]
	v_mul_f64 v[48:49], v[56:57], v[12:13]
	v_fma_f64 v[37:38], v[54:55], v[12:13], v[46:47]
	v_fma_f64 v[39:40], v[54:55], v[14:15], -v[48:49]
	s_clause 0x3
	buffer_load_dword v51, off, s[36:39], 0 offset:100
	buffer_load_dword v52, off, s[36:39], 0 offset:104
	;; [unrolled: 1-line block ×4, first 2 shown]
	v_mul_f64 v[12:13], v[33:34], s[2:3]
	v_mul_f64 v[14:15], v[35:36], s[2:3]
	;; [unrolled: 1-line block ×4, first 2 shown]
	v_add_co_u32 v37, s0, v43, s4
	v_add_co_ci_u32_e64 v38, s0, s5, v44, s0
	s_waitcnt vmcnt(0) lgkmcnt(1)
	v_mul_f64 v[41:42], v[53:54], v[22:23]
	v_mul_f64 v[45:46], v[53:54], v[20:21]
	s_clause 0x3
	buffer_load_dword v53, off, s[36:39], 0 offset:116
	buffer_load_dword v54, off, s[36:39], 0 offset:120
	;; [unrolled: 1-line block ×4, first 2 shown]
	v_fma_f64 v[35:36], v[51:52], v[20:21], v[41:42]
	v_fma_f64 v[39:40], v[51:52], v[22:23], -v[45:46]
	ds_read_b128 v[20:23], v30 offset:18816
	s_clause 0x3
	buffer_load_dword v57, off, s[36:39], 0 offset:84
	buffer_load_dword v58, off, s[36:39], 0 offset:88
	;; [unrolled: 1-line block ×4, first 2 shown]
	v_add_co_u32 v41, s0, v37, s6
	v_add_co_ci_u32_e64 v42, s0, s7, v38, s0
	global_store_dwordx4 v[43:44], v[24:27], off
	s_waitcnt vmcnt(4)
	v_mul_f64 v[47:48], v[55:56], v[2:3]
	v_mul_f64 v[49:50], v[55:56], v[0:1]
	v_fma_f64 v[45:46], v[53:54], v[0:1], v[47:48]
	v_fma_f64 v[47:48], v[53:54], v[2:3], -v[49:50]
	v_add_co_u32 v53, s0, v41, s4
	v_add_co_ci_u32_e64 v54, s0, s5, v42, s0
	ds_read_b128 v[0:3], v30 offset:7168
	global_store_dwordx4 v[37:38], v[8:11], off
	global_store_dwordx4 v[41:42], v[12:15], off
	;; [unrolled: 1-line block ×3, first 2 shown]
	s_waitcnt vmcnt(0) lgkmcnt(2)
	v_mul_f64 v[49:50], v[59:60], v[6:7]
	v_mul_f64 v[51:52], v[59:60], v[4:5]
	ds_read_b128 v[12:15], v30 offset:20608
	s_clause 0x3
	buffer_load_dword v59, off, s[36:39], 0 offset:68
	buffer_load_dword v60, off, s[36:39], 0 offset:72
	;; [unrolled: 1-line block ×4, first 2 shown]
	v_mul_f64 v[10:11], v[39:40], s[2:3]
	ds_read_b128 v[24:27], v30 offset:8960
	ds_read_b128 v[31:34], v30 offset:22400
	;; [unrolled: 1-line block ×3, first 2 shown]
	s_clause 0x7
	buffer_load_dword v71, off, s[36:39], 0 offset:52
	buffer_load_dword v72, off, s[36:39], 0 offset:56
	buffer_load_dword v73, off, s[36:39], 0 offset:60
	buffer_load_dword v74, off, s[36:39], 0 offset:64
	buffer_load_dword v77, off, s[36:39], 0 offset:180
	buffer_load_dword v78, off, s[36:39], 0 offset:184
	buffer_load_dword v79, off, s[36:39], 0 offset:188
	buffer_load_dword v80, off, s[36:39], 0 offset:192
	v_mul_f64 v[8:9], v[35:36], s[2:3]
	v_add_co_u32 v53, s0, v53, s6
	v_add_co_ci_u32_e64 v54, s0, s7, v54, s0
	v_mul_f64 v[35:36], v[45:46], s[2:3]
	v_mul_f64 v[37:38], v[47:48], s[2:3]
	v_fma_f64 v[4:5], v[57:58], v[4:5], v[49:50]
	v_fma_f64 v[6:7], v[57:58], v[6:7], -v[51:52]
	v_add_co_u32 v49, s0, v53, s4
	v_add_co_ci_u32_e64 v50, s0, s5, v54, s0
	v_mul_f64 v[4:5], v[4:5], s[2:3]
	v_mul_f64 v[6:7], v[6:7], s[2:3]
	s_waitcnt vmcnt(8) lgkmcnt(5)
	v_mul_f64 v[43:44], v[61:62], v[22:23]
	v_mul_f64 v[55:56], v[61:62], v[20:21]
	s_waitcnt vmcnt(4) lgkmcnt(4)
	v_mul_f64 v[45:46], v[73:74], v[2:3]
	v_mul_f64 v[47:48], v[73:74], v[0:1]
	s_waitcnt vmcnt(0) lgkmcnt(3)
	v_mul_f64 v[51:52], v[79:80], v[14:15]
	v_mul_f64 v[57:58], v[79:80], v[12:13]
	s_clause 0x7
	buffer_load_dword v73, off, s[36:39], 0 offset:164
	buffer_load_dword v74, off, s[36:39], 0 offset:168
	;; [unrolled: 1-line block ×8, first 2 shown]
	v_fma_f64 v[20:21], v[59:60], v[20:21], v[43:44]
	v_fma_f64 v[22:23], v[59:60], v[22:23], -v[55:56]
	v_fma_f64 v[12:13], v[77:78], v[12:13], v[51:52]
	v_fma_f64 v[14:15], v[77:78], v[14:15], -v[57:58]
	v_mul_f64 v[12:13], v[12:13], s[2:3]
	v_mul_f64 v[14:15], v[14:15], s[2:3]
	s_waitcnt vmcnt(4) lgkmcnt(2)
	v_mul_f64 v[43:44], v[75:76], v[26:27]
	s_waitcnt vmcnt(0) lgkmcnt(1)
	v_mul_f64 v[59:60], v[81:82], v[33:34]
	v_mul_f64 v[61:62], v[81:82], v[31:32]
	s_clause 0x3
	buffer_load_dword v81, off, s[36:39], 0 offset:212
	buffer_load_dword v82, off, s[36:39], 0 offset:216
	;; [unrolled: 1-line block ×4, first 2 shown]
	v_mul_f64 v[55:56], v[75:76], v[24:25]
	s_waitcnt vmcnt(0)
	v_mul_f64 v[63:64], v[83:84], v[18:19]
	v_mul_f64 v[65:66], v[83:84], v[16:17]
	s_clause 0x3
	buffer_load_dword v83, off, s[36:39], 0 offset:228
	buffer_load_dword v84, off, s[36:39], 0 offset:232
	;; [unrolled: 1-line block ×4, first 2 shown]
	global_store_dwordx4 v[53:54], v[8:11], off
	global_store_dwordx4 v[49:50], v[35:38], off
	v_fma_f64 v[8:9], v[71:72], v[0:1], v[45:46]
	v_fma_f64 v[10:11], v[71:72], v[2:3], -v[47:48]
	v_mul_f64 v[0:1], v[20:21], s[2:3]
	v_fma_f64 v[20:21], v[73:74], v[24:25], v[43:44]
	v_fma_f64 v[24:25], v[79:80], v[31:32], v[59:60]
	v_mul_f64 v[2:3], v[22:23], s[2:3]
	v_fma_f64 v[22:23], v[73:74], v[26:27], -v[55:56]
	v_add_co_u32 v35, s0, v49, s6
	v_fma_f64 v[26:27], v[79:80], v[33:34], -v[61:62]
	v_add_co_ci_u32_e64 v36, s0, s7, v50, s0
	global_store_dwordx4 v[35:36], v[4:7], off
	v_fma_f64 v[31:32], v[81:82], v[16:17], v[63:64]
	v_fma_f64 v[33:34], v[81:82], v[18:19], -v[65:66]
	v_mul_f64 v[8:9], v[8:9], s[2:3]
	v_mul_f64 v[10:11], v[10:11], s[2:3]
	;; [unrolled: 1-line block ×8, first 2 shown]
	s_waitcnt vmcnt(0) lgkmcnt(0)
	v_mul_f64 v[67:68], v[85:86], v[41:42]
	v_mul_f64 v[69:70], v[85:86], v[39:40]
	v_fma_f64 v[37:38], v[83:84], v[39:40], v[67:68]
	v_fma_f64 v[39:40], v[83:84], v[41:42], -v[69:70]
	v_add_co_u32 v41, s0, v35, s4
	v_add_co_ci_u32_e64 v42, s0, s5, v36, s0
	v_add_co_u32 v43, s0, v41, s6
	v_add_co_ci_u32_e64 v44, s0, s7, v42, s0
	global_store_dwordx4 v[41:42], v[0:3], off
	v_add_co_u32 v45, s0, v43, s4
	v_add_co_ci_u32_e64 v46, s0, s5, v44, s0
	global_store_dwordx4 v[43:44], v[8:11], off
	v_mul_f64 v[31:32], v[37:38], s[2:3]
	v_add_co_u32 v37, s0, v45, s6
	v_add_co_ci_u32_e64 v38, s0, s7, v46, s0
	v_mul_f64 v[33:34], v[39:40], s[2:3]
	v_add_co_u32 v4, s0, v37, s4
	v_add_co_ci_u32_e64 v5, s0, s5, v38, s0
	v_add_co_u32 v2, s0, v4, s6
	v_add_co_ci_u32_e64 v3, s0, s7, v5, s0
	;; [unrolled: 2-line block ×3, first 2 shown]
	global_store_dwordx4 v[45:46], v[12:15], off
	global_store_dwordx4 v[37:38], v[16:19], off
	;; [unrolled: 1-line block ×5, first 2 shown]
	s_and_b32 exec_lo, exec_lo, vcc_lo
	s_cbranch_execz .LBB0_47
; %bb.46:
	s_clause 0x1
	buffer_load_dword v2, off, s[36:39], 0 offset:4
	buffer_load_dword v3, off, s[36:39], 0 offset:8
	s_waitcnt vmcnt(0)
	global_load_dwordx4 v[2:5], v[2:3], off offset:256
	ds_read_b128 v[6:9], v30 offset:12544
	ds_read_b128 v[10:13], v30 offset:25984
	s_waitcnt vmcnt(0) lgkmcnt(1)
	v_mul_f64 v[14:15], v[8:9], v[4:5]
	v_mul_f64 v[4:5], v[6:7], v[4:5]
	v_fma_f64 v[6:7], v[6:7], v[2:3], v[14:15]
	v_fma_f64 v[4:5], v[2:3], v[8:9], -v[4:5]
	v_mul_f64 v[2:3], v[6:7], s[2:3]
	v_mul_f64 v[4:5], v[4:5], s[2:3]
	v_add_co_u32 v6, vcc_lo, v0, s6
	v_add_co_ci_u32_e32 v7, vcc_lo, s7, v1, vcc_lo
	v_add_co_u32 v0, vcc_lo, 0x6000, v28
	v_add_co_ci_u32_e32 v1, vcc_lo, 0, v29, vcc_lo
	global_store_dwordx4 v[6:7], v[2:5], off
	global_load_dwordx4 v[0:3], v[0:1], off offset:1408
	s_waitcnt vmcnt(0) lgkmcnt(0)
	v_mul_f64 v[4:5], v[12:13], v[2:3]
	v_mul_f64 v[2:3], v[10:11], v[2:3]
	v_fma_f64 v[4:5], v[10:11], v[0:1], v[4:5]
	v_fma_f64 v[2:3], v[0:1], v[12:13], -v[2:3]
	v_mul_f64 v[0:1], v[4:5], s[2:3]
	v_mul_f64 v[2:3], v[2:3], s[2:3]
	v_add_co_u32 v4, vcc_lo, v6, s4
	v_add_co_ci_u32_e32 v5, vcc_lo, s5, v7, vcc_lo
	global_store_dwordx4 v[4:5], v[0:3], off
.LBB0_47:
	s_endpgm
	.section	.rodata,"a",@progbits
	.p2align	6, 0x0
	.amdhsa_kernel bluestein_single_back_len1680_dim1_dp_op_CI_CI
		.amdhsa_group_segment_fixed_size 26880
		.amdhsa_private_segment_fixed_size 416
		.amdhsa_kernarg_size 104
		.amdhsa_user_sgpr_count 6
		.amdhsa_user_sgpr_private_segment_buffer 1
		.amdhsa_user_sgpr_dispatch_ptr 0
		.amdhsa_user_sgpr_queue_ptr 0
		.amdhsa_user_sgpr_kernarg_segment_ptr 1
		.amdhsa_user_sgpr_dispatch_id 0
		.amdhsa_user_sgpr_flat_scratch_init 0
		.amdhsa_user_sgpr_private_segment_size 0
		.amdhsa_wavefront_size32 1
		.amdhsa_uses_dynamic_stack 0
		.amdhsa_system_sgpr_private_segment_wavefront_offset 1
		.amdhsa_system_sgpr_workgroup_id_x 1
		.amdhsa_system_sgpr_workgroup_id_y 0
		.amdhsa_system_sgpr_workgroup_id_z 0
		.amdhsa_system_sgpr_workgroup_info 0
		.amdhsa_system_vgpr_workitem_id 0
		.amdhsa_next_free_vgpr 256
		.amdhsa_next_free_sgpr 40
		.amdhsa_reserve_vcc 1
		.amdhsa_reserve_flat_scratch 0
		.amdhsa_float_round_mode_32 0
		.amdhsa_float_round_mode_16_64 0
		.amdhsa_float_denorm_mode_32 3
		.amdhsa_float_denorm_mode_16_64 3
		.amdhsa_dx10_clamp 1
		.amdhsa_ieee_mode 1
		.amdhsa_fp16_overflow 0
		.amdhsa_workgroup_processor_mode 1
		.amdhsa_memory_ordered 1
		.amdhsa_forward_progress 0
		.amdhsa_shared_vgpr_count 0
		.amdhsa_exception_fp_ieee_invalid_op 0
		.amdhsa_exception_fp_denorm_src 0
		.amdhsa_exception_fp_ieee_div_zero 0
		.amdhsa_exception_fp_ieee_overflow 0
		.amdhsa_exception_fp_ieee_underflow 0
		.amdhsa_exception_fp_ieee_inexact 0
		.amdhsa_exception_int_div_zero 0
	.end_amdhsa_kernel
	.text
.Lfunc_end0:
	.size	bluestein_single_back_len1680_dim1_dp_op_CI_CI, .Lfunc_end0-bluestein_single_back_len1680_dim1_dp_op_CI_CI
                                        ; -- End function
	.section	.AMDGPU.csdata,"",@progbits
; Kernel info:
; codeLenInByte = 26872
; NumSgprs: 42
; NumVgprs: 256
; ScratchSize: 416
; MemoryBound: 0
; FloatMode: 240
; IeeeMode: 1
; LDSByteSize: 26880 bytes/workgroup (compile time only)
; SGPRBlocks: 5
; VGPRBlocks: 31
; NumSGPRsForWavesPerEU: 42
; NumVGPRsForWavesPerEU: 256
; Occupancy: 4
; WaveLimiterHint : 1
; COMPUTE_PGM_RSRC2:SCRATCH_EN: 1
; COMPUTE_PGM_RSRC2:USER_SGPR: 6
; COMPUTE_PGM_RSRC2:TRAP_HANDLER: 0
; COMPUTE_PGM_RSRC2:TGID_X_EN: 1
; COMPUTE_PGM_RSRC2:TGID_Y_EN: 0
; COMPUTE_PGM_RSRC2:TGID_Z_EN: 0
; COMPUTE_PGM_RSRC2:TIDIG_COMP_CNT: 0
	.text
	.p2alignl 6, 3214868480
	.fill 48, 4, 3214868480
	.type	__hip_cuid_1daa2376d3faf5b4,@object ; @__hip_cuid_1daa2376d3faf5b4
	.section	.bss,"aw",@nobits
	.globl	__hip_cuid_1daa2376d3faf5b4
__hip_cuid_1daa2376d3faf5b4:
	.byte	0                               ; 0x0
	.size	__hip_cuid_1daa2376d3faf5b4, 1

	.ident	"AMD clang version 19.0.0git (https://github.com/RadeonOpenCompute/llvm-project roc-6.4.0 25133 c7fe45cf4b819c5991fe208aaa96edf142730f1d)"
	.section	".note.GNU-stack","",@progbits
	.addrsig
	.addrsig_sym __hip_cuid_1daa2376d3faf5b4
	.amdgpu_metadata
---
amdhsa.kernels:
  - .args:
      - .actual_access:  read_only
        .address_space:  global
        .offset:         0
        .size:           8
        .value_kind:     global_buffer
      - .actual_access:  read_only
        .address_space:  global
        .offset:         8
        .size:           8
        .value_kind:     global_buffer
      - .actual_access:  read_only
        .address_space:  global
        .offset:         16
        .size:           8
        .value_kind:     global_buffer
      - .actual_access:  read_only
        .address_space:  global
        .offset:         24
        .size:           8
        .value_kind:     global_buffer
      - .actual_access:  read_only
        .address_space:  global
        .offset:         32
        .size:           8
        .value_kind:     global_buffer
      - .offset:         40
        .size:           8
        .value_kind:     by_value
      - .address_space:  global
        .offset:         48
        .size:           8
        .value_kind:     global_buffer
      - .address_space:  global
        .offset:         56
        .size:           8
        .value_kind:     global_buffer
      - .address_space:  global
        .offset:         64
        .size:           8
        .value_kind:     global_buffer
      - .address_space:  global
        .offset:         72
        .size:           8
        .value_kind:     global_buffer
      - .offset:         80
        .size:           4
        .value_kind:     by_value
      - .address_space:  global
        .offset:         88
        .size:           8
        .value_kind:     global_buffer
      - .address_space:  global
        .offset:         96
        .size:           8
        .value_kind:     global_buffer
    .group_segment_fixed_size: 26880
    .kernarg_segment_align: 8
    .kernarg_segment_size: 104
    .language:       OpenCL C
    .language_version:
      - 2
      - 0
    .max_flat_workgroup_size: 112
    .name:           bluestein_single_back_len1680_dim1_dp_op_CI_CI
    .private_segment_fixed_size: 416
    .sgpr_count:     42
    .sgpr_spill_count: 0
    .symbol:         bluestein_single_back_len1680_dim1_dp_op_CI_CI.kd
    .uniform_work_group_size: 1
    .uses_dynamic_stack: false
    .vgpr_count:     256
    .vgpr_spill_count: 103
    .wavefront_size: 32
    .workgroup_processor_mode: 1
amdhsa.target:   amdgcn-amd-amdhsa--gfx1030
amdhsa.version:
  - 1
  - 2
...

	.end_amdgpu_metadata
